;; amdgpu-corpus repo=ROCm/rocFFT kind=compiled arch=gfx1100 opt=O3
	.text
	.amdgcn_target "amdgcn-amd-amdhsa--gfx1100"
	.amdhsa_code_object_version 6
	.protected	bluestein_single_fwd_len3375_dim1_dp_op_CI_CI ; -- Begin function bluestein_single_fwd_len3375_dim1_dp_op_CI_CI
	.globl	bluestein_single_fwd_len3375_dim1_dp_op_CI_CI
	.p2align	8
	.type	bluestein_single_fwd_len3375_dim1_dp_op_CI_CI,@function
bluestein_single_fwd_len3375_dim1_dp_op_CI_CI: ; @bluestein_single_fwd_len3375_dim1_dp_op_CI_CI
; %bb.0:
	s_load_b128 s[16:19], s[0:1], 0x28
	v_mul_u32_u24_e32 v1, 0x124, v0
	s_mov_b32 s2, exec_lo
	v_mov_b32_e32 v2, 0
	s_delay_alu instid0(VALU_DEP_2) | instskip(NEXT) | instid1(VALU_DEP_1)
	v_lshrrev_b32_e32 v3, 16, v1
	v_add_nc_u32_e32 v1, s15, v3
	s_waitcnt lgkmcnt(0)
	s_delay_alu instid0(VALU_DEP_1)
	v_cmpx_gt_u64_e64 s[16:17], v[1:2]
	s_cbranch_execz .LBB0_2
; %bb.1:
	s_clause 0x2
	s_load_b128 s[4:7], s[0:1], 0x0
	s_load_b128 s[8:11], s[0:1], 0x18
	s_load_b64 s[12:13], s[0:1], 0x38
	s_mov_b32 s15, 0xbfee6f0e
	s_waitcnt lgkmcnt(0)
	s_load_b128 s[0:3], s[10:11], 0x0
	s_load_b128 s[8:11], s[8:9], 0x0
	s_waitcnt lgkmcnt(0)
	v_mad_u64_u32 v[6:7], null, s2, v1, 0
	s_delay_alu instid0(VALU_DEP_1) | instskip(NEXT) | instid1(VALU_DEP_1)
	v_mov_b32_e32 v2, v7
	v_mad_u64_u32 v[4:5], null, s3, v1, v[2:3]
	s_mul_hi_u32 s3, s8, 0x2a30
	s_delay_alu instid0(VALU_DEP_1) | instskip(SKIP_3) | instid1(VALU_DEP_1)
	v_mov_b32_e32 v7, v4
	v_mad_u64_u32 v[4:5], null, s10, v1, 0
	scratch_store_b64 off, v[6:7], off offset:208 ; 8-byte Folded Spill
	v_mov_b32_e32 v2, v5
	v_mad_u64_u32 v[5:6], null, s11, v1, v[2:3]
	v_mul_lo_u16 v1, 0xe1, v3
	s_mov_b32 s11, 0xbfe2cf23
	s_delay_alu instid0(VALU_DEP_1) | instskip(NEXT) | instid1(VALU_DEP_1)
	v_sub_nc_u16 v75, v0, v1
	v_and_b32_e32 v6, 0xffff, v75
	s_delay_alu instid0(VALU_DEP_1) | instskip(SKIP_1) | instid1(VALU_DEP_1)
	v_mad_u64_u32 v[0:1], null, s8, v6, 0
	v_mov_b32_e32 v71, v6
	v_lshlrev_b32_e32 v40, 4, v71
	s_delay_alu instid0(VALU_DEP_3) | instskip(SKIP_3) | instid1(VALU_DEP_1)
	v_mad_u64_u32 v[2:3], null, s9, v6, v[1:2]
	v_add_co_u32 v188, null, 0x384, v71
	global_load_b128 v[10:13], v40, s[4:5]
	v_add_co_u32 v74, s2, s4, v40
	v_add_co_ci_u32_e64 v73, null, s5, 0, s2
	v_mov_b32_e32 v1, v2
	v_lshlrev_b64 v[2:3], 4, v[4:5]
	s_mul_i32 s2, s9, 0x2a30
	s_mul_i32 s9, s9, 0xffff6550
	s_add_i32 s2, s3, s2
	v_lshlrev_b64 v[0:1], 4, v[0:1]
	s_mul_i32 s3, s8, 0x2a30
	v_add_co_u32 v2, vcc_lo, s18, v2
	v_add_co_ci_u32_e32 v3, vcc_lo, s19, v3, vcc_lo
	s_sub_i32 s9, s9, s8
	s_delay_alu instid0(VALU_DEP_2) | instskip(NEXT) | instid1(VALU_DEP_2)
	v_add_co_u32 v8, vcc_lo, v2, v0
	v_add_co_ci_u32_e32 v9, vcc_lo, v3, v1, vcc_lo
	v_add_co_u32 v70, s10, 0xe1, v71
	s_delay_alu instid0(VALU_DEP_1)
	v_add_co_ci_u32_e64 v77, null, 0, 0, s10
	global_load_b128 v[0:3], v[8:9], off
	v_add_co_u32 v8, vcc_lo, v8, s3
	v_add_co_ci_u32_e32 v9, vcc_lo, s2, v9, vcc_lo
	v_add_co_u32 v76, null, 0x1c2, v71
	v_add_co_u32 v72, null, 0x2a3, v71
	s_mov_b32 s19, 0xbfebb67a
	s_waitcnt vmcnt(1)
	scratch_store_b128 off, v[10:13], off offset:232 ; 16-byte Folded Spill
	s_waitcnt vmcnt(0)
	v_mul_f64 v[4:5], v[2:3], v[12:13]
	s_delay_alu instid0(VALU_DEP_1) | instskip(SKIP_1) | instid1(VALU_DEP_1)
	v_fma_f64 v[4:5], v[0:1], v[10:11], v[4:5]
	v_mul_f64 v[0:1], v[0:1], v[12:13]
	v_fma_f64 v[6:7], v[2:3], v[10:11], -v[0:1]
	global_load_b128 v[0:3], v[8:9], off
	ds_store_b128 v40, v[4:7]
	v_add_co_u32 v4, vcc_lo, 0x2000, v74
	v_add_co_ci_u32_e32 v5, vcc_lo, 0, v73, vcc_lo
	v_add_co_u32 v8, vcc_lo, v8, s3
	v_add_co_ci_u32_e32 v9, vcc_lo, s2, v9, vcc_lo
	global_load_b128 v[10:13], v[4:5], off offset:2608
	s_waitcnt vmcnt(0)
	v_mul_f64 v[4:5], v[2:3], v[12:13]
	scratch_store_b128 off, v[10:13], off offset:48 ; 16-byte Folded Spill
	v_fma_f64 v[4:5], v[0:1], v[10:11], v[4:5]
	v_mul_f64 v[0:1], v[0:1], v[12:13]
	s_delay_alu instid0(VALU_DEP_1)
	v_fma_f64 v[6:7], v[2:3], v[10:11], -v[0:1]
	global_load_b128 v[0:3], v[8:9], off
	ds_store_b128 v40, v[4:7] offset:10800
	v_add_co_u32 v4, vcc_lo, 0x5000, v74
	v_add_co_ci_u32_e32 v5, vcc_lo, 0, v73, vcc_lo
	global_load_b128 v[10:13], v[4:5], off offset:1120
	s_waitcnt vmcnt(0)
	v_mul_f64 v[4:5], v[2:3], v[12:13]
	scratch_store_b128 off, v[10:13], off offset:32 ; 16-byte Folded Spill
	v_fma_f64 v[4:5], v[0:1], v[10:11], v[4:5]
	v_mul_f64 v[0:1], v[0:1], v[12:13]
	s_delay_alu instid0(VALU_DEP_1)
	v_fma_f64 v[6:7], v[2:3], v[10:11], -v[0:1]
	v_add_co_u32 v10, vcc_lo, v8, s3
	v_add_co_ci_u32_e32 v11, vcc_lo, s2, v9, vcc_lo
	v_add_co_u32 v0, vcc_lo, 0x7000, v74
	v_add_co_ci_u32_e32 v1, vcc_lo, 0, v73, vcc_lo
	global_load_b128 v[12:15], v[0:1], off offset:3728
	ds_store_b128 v40, v[4:7] offset:21600
	global_load_b128 v[2:5], v[10:11], off
	v_add_co_u32 v10, vcc_lo, v10, s3
	v_add_co_ci_u32_e32 v11, vcc_lo, s2, v11, vcc_lo
	s_waitcnt vmcnt(1)
	scratch_store_b128 off, v[12:15], off offset:16 ; 16-byte Folded Spill
	s_waitcnt vmcnt(0)
	v_mul_f64 v[6:7], v[4:5], v[14:15]
	s_delay_alu instid0(VALU_DEP_1) | instskip(SKIP_1) | instid1(VALU_DEP_1)
	v_fma_f64 v[6:7], v[2:3], v[12:13], v[6:7]
	v_mul_f64 v[2:3], v[2:3], v[14:15]
	v_fma_f64 v[8:9], v[4:5], v[12:13], -v[2:3]
	global_load_b128 v[2:5], v[10:11], off
	ds_store_b128 v40, v[6:9] offset:32400
	v_add_co_u32 v6, vcc_lo, 0xa000, v74
	v_add_co_ci_u32_e32 v7, vcc_lo, 0, v73, vcc_lo
	global_load_b128 v[12:15], v[6:7], off offset:2240
	s_waitcnt vmcnt(0)
	v_mul_f64 v[6:7], v[4:5], v[14:15]
	scratch_store_b128 off, v[12:15], off   ; 16-byte Folded Spill
	v_fma_f64 v[6:7], v[2:3], v[12:13], v[6:7]
	v_mul_f64 v[2:3], v[2:3], v[14:15]
	s_delay_alu instid0(VALU_DEP_1) | instskip(SKIP_1) | instid1(VALU_DEP_1)
	v_fma_f64 v[8:9], v[4:5], v[12:13], -v[2:3]
	v_mad_u64_u32 v[12:13], null, 0xffff6550, s8, v[10:11]
	v_add_nc_u32_e32 v13, s9, v13
	ds_store_b128 v40, v[6:9] offset:43200
	global_load_b128 v[2:5], v[12:13], off
	global_load_b128 v[8:11], v40, s[4:5] offset:3600
	s_mov_b32 s4, 0x372fe950
	s_mov_b32 s5, 0x3fd3c6ef
	s_waitcnt vmcnt(0)
	v_mul_f64 v[6:7], v[4:5], v[10:11]
	scratch_store_b128 off, v[8:11], off offset:80 ; 16-byte Folded Spill
	v_fma_f64 v[6:7], v[2:3], v[8:9], v[6:7]
	v_mul_f64 v[2:3], v[2:3], v[10:11]
	v_add_co_u32 v10, vcc_lo, v12, s3
	v_add_co_ci_u32_e32 v11, vcc_lo, s2, v13, vcc_lo
	s_delay_alu instid0(VALU_DEP_3)
	v_fma_f64 v[8:9], v[4:5], v[8:9], -v[2:3]
	global_load_b128 v[2:5], v[10:11], off
	ds_store_b128 v40, v[6:9] offset:3600
	v_add_co_u32 v6, vcc_lo, 0x3000, v74
	v_add_co_ci_u32_e32 v7, vcc_lo, 0, v73, vcc_lo
	v_add_co_u32 v10, vcc_lo, v10, s3
	v_add_co_ci_u32_e32 v11, vcc_lo, s2, v11, vcc_lo
	global_load_b128 v[12:15], v[6:7], off offset:2112
	s_waitcnt vmcnt(0)
	v_mul_f64 v[6:7], v[4:5], v[14:15]
	scratch_store_b128 off, v[12:15], off offset:64 ; 16-byte Folded Spill
	v_fma_f64 v[6:7], v[2:3], v[12:13], v[6:7]
	v_mul_f64 v[2:3], v[2:3], v[14:15]
	s_delay_alu instid0(VALU_DEP_1)
	v_fma_f64 v[8:9], v[4:5], v[12:13], -v[2:3]
	global_load_b128 v[2:5], v[10:11], off
	ds_store_b128 v40, v[6:9] offset:14400
	v_add_co_u32 v6, vcc_lo, 0x6000, v74
	v_add_co_ci_u32_e32 v7, vcc_lo, 0, v73, vcc_lo
	v_add_co_u32 v10, vcc_lo, v10, s3
	v_add_co_ci_u32_e32 v11, vcc_lo, s2, v11, vcc_lo
	global_load_b128 v[12:15], v[6:7], off offset:624
	s_waitcnt vmcnt(0)
	v_mul_f64 v[6:7], v[4:5], v[14:15]
	scratch_store_b128 off, v[12:15], off offset:96 ; 16-byte Folded Spill
	v_fma_f64 v[6:7], v[2:3], v[12:13], v[6:7]
	v_mul_f64 v[2:3], v[2:3], v[14:15]
	s_delay_alu instid0(VALU_DEP_1)
	;; [unrolled: 14-line block ×3, first 2 shown]
	v_fma_f64 v[8:9], v[4:5], v[12:13], -v[2:3]
	global_load_b128 v[2:5], v[10:11], off
	ds_store_b128 v40, v[6:9] offset:36000
	v_add_co_u32 v6, vcc_lo, 0xb000, v74
	v_add_co_ci_u32_e32 v7, vcc_lo, 0, v73, vcc_lo
	global_load_b128 v[12:15], v[6:7], off offset:1744
	s_waitcnt vmcnt(0)
	v_mul_f64 v[6:7], v[4:5], v[14:15]
	scratch_store_b128 off, v[12:15], off offset:128 ; 16-byte Folded Spill
	v_fma_f64 v[6:7], v[2:3], v[12:13], v[6:7]
	v_mul_f64 v[2:3], v[2:3], v[14:15]
	s_delay_alu instid0(VALU_DEP_1) | instskip(SKIP_1) | instid1(VALU_DEP_1)
	v_fma_f64 v[8:9], v[4:5], v[12:13], -v[2:3]
	v_mad_u64_u32 v[12:13], null, 0xffff6550, s8, v[10:11]
	v_add_nc_u32_e32 v13, s9, v13
	s_mov_b32 s8, 0x4755a5e
	s_mov_b32 s9, 0x3fe2cf23
	;; [unrolled: 1-line block ×3, first 2 shown]
	global_load_b128 v[2:5], v[12:13], off
	ds_store_b128 v40, v[6:9] offset:46800
	v_add_co_u32 v6, vcc_lo, 0x1000, v74
	v_add_co_ci_u32_e32 v7, vcc_lo, 0, v73, vcc_lo
	global_load_b128 v[8:11], v[6:7], off offset:3104
	s_waitcnt vmcnt(0)
	v_mul_f64 v[6:7], v[4:5], v[10:11]
	scratch_store_b128 off, v[8:11], off offset:160 ; 16-byte Folded Spill
	v_fma_f64 v[6:7], v[2:3], v[8:9], v[6:7]
	v_mul_f64 v[2:3], v[2:3], v[10:11]
	v_add_co_u32 v10, vcc_lo, v12, s3
	v_add_co_ci_u32_e32 v11, vcc_lo, s2, v13, vcc_lo
	s_delay_alu instid0(VALU_DEP_3)
	v_fma_f64 v[8:9], v[4:5], v[8:9], -v[2:3]
	global_load_b128 v[2:5], v[10:11], off
	ds_store_b128 v40, v[6:9] offset:7200
	v_add_co_u32 v6, vcc_lo, 0x4000, v74
	v_add_co_ci_u32_e32 v7, vcc_lo, 0, v73, vcc_lo
	global_load_b128 v[12:15], v[6:7], off offset:1616
	s_waitcnt vmcnt(0)
	v_mul_f64 v[6:7], v[4:5], v[14:15]
	scratch_store_b128 off, v[12:15], off offset:176 ; 16-byte Folded Spill
	v_fma_f64 v[6:7], v[2:3], v[12:13], v[6:7]
	v_mul_f64 v[2:3], v[2:3], v[14:15]
	s_delay_alu instid0(VALU_DEP_1)
	v_fma_f64 v[8:9], v[4:5], v[12:13], -v[2:3]
	ds_store_b128 v40, v[6:9] offset:18000
	v_add_co_u32 v6, vcc_lo, v10, s3
	v_add_co_ci_u32_e32 v7, vcc_lo, s2, v11, vcc_lo
	global_load_b128 v[2:5], v[6:7], off
	global_load_b128 v[8:11], v[0:1], off offset:128
	s_waitcnt vmcnt(0)
	v_mul_f64 v[0:1], v[4:5], v[10:11]
	scratch_store_b128 off, v[8:11], off offset:144 ; 16-byte Folded Spill
	v_fma_f64 v[0:1], v[2:3], v[8:9], v[0:1]
	v_mul_f64 v[2:3], v[2:3], v[10:11]
	s_delay_alu instid0(VALU_DEP_1)
	v_fma_f64 v[2:3], v[4:5], v[8:9], -v[2:3]
	v_add_co_u32 v8, vcc_lo, v6, s3
	v_add_co_ci_u32_e32 v9, vcc_lo, s2, v7, vcc_lo
	v_add_co_u32 v4, vcc_lo, 0x9000, v74
	v_add_co_ci_u32_e32 v5, vcc_lo, 0, v73, vcc_lo
	global_load_b128 v[10:13], v[4:5], off offset:2736
	ds_store_b128 v40, v[0:3] offset:28800
	global_load_b128 v[0:3], v[8:9], off
	s_waitcnt vmcnt(0)
	v_mul_f64 v[4:5], v[2:3], v[12:13]
	s_delay_alu instid0(VALU_DEP_1) | instskip(SKIP_1) | instid1(VALU_DEP_1)
	v_fma_f64 v[4:5], v[0:1], v[10:11], v[4:5]
	v_mul_f64 v[0:1], v[0:1], v[12:13]
	v_fma_f64 v[6:7], v[2:3], v[10:11], -v[0:1]
	v_add_co_u32 v0, vcc_lo, v8, s3
	v_add_co_ci_u32_e32 v1, vcc_lo, s2, v9, vcc_lo
	s_mov_b32 s2, 0x134454ff
	s_mov_b32 s3, 0x3fee6f0e
	;; [unrolled: 1-line block ×3, first 2 shown]
	global_load_b128 v[0:3], v[0:1], off
	ds_store_b128 v40, v[4:7] offset:39600
	v_add_co_u32 v4, vcc_lo, 0xc000, v74
	v_add_co_ci_u32_e32 v5, vcc_lo, 0, v73, vcc_lo
	v_cmp_gt_u16_e32 vcc_lo, 0x7d, v75
	global_load_b128 v[6:9], v[4:5], off offset:1248
	scratch_store_b128 off, v[10:13], off offset:192 ; 16-byte Folded Spill
	s_waitcnt vmcnt(0)
	scratch_store_b128 off, v[6:9], off offset:216 ; 16-byte Folded Spill
	v_mul_f64 v[4:5], v[2:3], v[8:9]
	s_delay_alu instid0(VALU_DEP_1) | instskip(SKIP_1) | instid1(VALU_DEP_1)
	v_fma_f64 v[4:5], v[0:1], v[6:7], v[4:5]
	v_mul_f64 v[0:1], v[0:1], v[8:9]
	v_fma_f64 v[6:7], v[2:3], v[6:7], -v[0:1]
	ds_store_b128 v40, v[4:7] offset:50400
	s_waitcnt lgkmcnt(0)
	s_waitcnt_vscnt null, 0x0
	s_barrier
	buffer_gl0_inv
	ds_load_b128 v[12:15], v40
	ds_load_b128 v[41:44], v40 offset:10800
	ds_load_b128 v[45:48], v40 offset:21600
	ds_load_b128 v[49:52], v40 offset:32400
	ds_load_b128 v[53:56], v40 offset:43200
	ds_load_b128 v[57:60], v40 offset:3600
	ds_load_b128 v[61:64], v40 offset:14400
	ds_load_b128 v[65:68], v40 offset:25200
	ds_load_b128 v[78:81], v40 offset:36000
	ds_load_b128 v[82:85], v40 offset:46800
	ds_load_b128 v[36:39], v40 offset:7200
	ds_load_b128 v[28:31], v40 offset:18000
	ds_load_b128 v[32:35], v40 offset:28800
	ds_load_b128 v[20:23], v40 offset:39600
	ds_load_b128 v[24:27], v40 offset:50400
	s_waitcnt lgkmcnt(0)
	s_barrier
	buffer_gl0_inv
	v_add_f64 v[0:1], v[12:13], v[41:42]
	v_add_f64 v[8:9], v[41:42], -v[45:46]
	v_add_f64 v[2:3], v[45:46], v[49:50]
	v_add_f64 v[6:7], v[43:44], -v[55:56]
	v_add_f64 v[10:11], v[47:48], -v[51:52]
	v_add_f64 v[16:17], v[53:54], -v[49:50]
	v_add_f64 v[18:19], v[49:50], -v[53:54]
	v_add_f64 v[0:1], v[0:1], v[45:46]
	v_fma_f64 v[2:3], v[2:3], -0.5, v[12:13]
	s_delay_alu instid0(VALU_DEP_4) | instskip(SKIP_1) | instid1(VALU_DEP_4)
	v_add_f64 v[8:9], v[8:9], v[16:17]
	v_add_f64 v[16:17], v[45:46], -v[41:42]
	v_add_f64 v[0:1], v[0:1], v[49:50]
	s_delay_alu instid0(VALU_DEP_4) | instskip(SKIP_1) | instid1(VALU_DEP_4)
	v_fma_f64 v[4:5], v[6:7], s[2:3], v[2:3]
	v_fma_f64 v[2:3], v[6:7], s[14:15], v[2:3]
	v_add_f64 v[16:17], v[16:17], v[18:19]
	v_add_f64 v[18:19], v[41:42], -v[53:54]
	v_add_f64 v[0:1], v[0:1], v[53:54]
	v_fma_f64 v[4:5], v[10:11], s[8:9], v[4:5]
	v_fma_f64 v[2:3], v[10:11], s[10:11], v[2:3]
	s_delay_alu instid0(VALU_DEP_2) | instskip(NEXT) | instid1(VALU_DEP_2)
	v_fma_f64 v[4:5], v[8:9], s[4:5], v[4:5]
	v_fma_f64 v[8:9], v[8:9], s[4:5], v[2:3]
	v_add_f64 v[2:3], v[41:42], v[53:54]
	v_add_f64 v[41:42], v[45:46], -v[49:50]
	v_add_f64 v[45:46], v[43:44], -v[47:48]
	;; [unrolled: 1-line block ×4, first 2 shown]
	v_fma_f64 v[2:3], v[2:3], -0.5, v[12:13]
	s_delay_alu instid0(VALU_DEP_3) | instskip(SKIP_1) | instid1(VALU_DEP_3)
	v_add_f64 v[45:46], v[45:46], v[49:50]
	v_add_f64 v[49:50], v[61:62], -v[65:66]
	v_fma_f64 v[12:13], v[10:11], s[14:15], v[2:3]
	v_fma_f64 v[2:3], v[10:11], s[2:3], v[2:3]
	s_delay_alu instid0(VALU_DEP_3) | instskip(NEXT) | instid1(VALU_DEP_3)
	v_add_f64 v[49:50], v[49:50], v[53:54]
	v_fma_f64 v[12:13], v[6:7], s[8:9], v[12:13]
	s_delay_alu instid0(VALU_DEP_3) | instskip(SKIP_1) | instid1(VALU_DEP_3)
	v_fma_f64 v[2:3], v[6:7], s[10:11], v[2:3]
	v_add_f64 v[6:7], v[47:48], v[51:52]
	v_fma_f64 v[12:13], v[16:17], s[4:5], v[12:13]
	s_delay_alu instid0(VALU_DEP_3) | instskip(NEXT) | instid1(VALU_DEP_3)
	v_fma_f64 v[16:17], v[16:17], s[4:5], v[2:3]
	v_fma_f64 v[10:11], v[6:7], -0.5, v[14:15]
	v_add_f64 v[2:3], v[14:15], v[43:44]
	s_delay_alu instid0(VALU_DEP_2) | instskip(SKIP_1) | instid1(VALU_DEP_3)
	v_fma_f64 v[6:7], v[18:19], s[14:15], v[10:11]
	v_fma_f64 v[10:11], v[18:19], s[2:3], v[10:11]
	v_add_f64 v[2:3], v[2:3], v[47:48]
	s_delay_alu instid0(VALU_DEP_3) | instskip(NEXT) | instid1(VALU_DEP_3)
	v_fma_f64 v[6:7], v[41:42], s[10:11], v[6:7]
	v_fma_f64 v[10:11], v[41:42], s[8:9], v[10:11]
	s_delay_alu instid0(VALU_DEP_3) | instskip(NEXT) | instid1(VALU_DEP_3)
	v_add_f64 v[2:3], v[2:3], v[51:52]
	v_fma_f64 v[6:7], v[45:46], s[4:5], v[6:7]
	s_delay_alu instid0(VALU_DEP_3)
	v_fma_f64 v[10:11], v[45:46], s[4:5], v[10:11]
	v_add_f64 v[45:46], v[43:44], v[55:56]
	v_add_f64 v[43:44], v[47:48], -v[43:44]
	v_add_f64 v[47:48], v[51:52], -v[55:56]
	;; [unrolled: 1-line block ×3, first 2 shown]
	v_add_f64 v[2:3], v[2:3], v[55:56]
	v_add_f64 v[55:56], v[65:66], -v[61:62]
	v_fma_f64 v[45:46], v[45:46], -0.5, v[14:15]
	v_add_f64 v[43:44], v[43:44], v[47:48]
	v_add_f64 v[47:48], v[63:64], -v[84:85]
	s_delay_alu instid0(VALU_DEP_3) | instskip(SKIP_1) | instid1(VALU_DEP_2)
	v_fma_f64 v[14:15], v[41:42], s[2:3], v[45:46]
	v_fma_f64 v[41:42], v[41:42], s[14:15], v[45:46]
	;; [unrolled: 1-line block ×3, first 2 shown]
	s_delay_alu instid0(VALU_DEP_2) | instskip(SKIP_1) | instid1(VALU_DEP_3)
	v_fma_f64 v[18:19], v[18:19], s[8:9], v[41:42]
	v_add_f64 v[41:42], v[57:58], v[61:62]
	v_fma_f64 v[14:15], v[43:44], s[4:5], v[14:15]
	s_delay_alu instid0(VALU_DEP_3) | instskip(SKIP_1) | instid1(VALU_DEP_4)
	v_fma_f64 v[18:19], v[43:44], s[4:5], v[18:19]
	v_add_f64 v[43:44], v[65:66], v[78:79]
	v_add_f64 v[41:42], v[41:42], v[65:66]
	v_add_f64 v[65:66], v[65:66], -v[78:79]
	s_delay_alu instid0(VALU_DEP_3) | instskip(NEXT) | instid1(VALU_DEP_3)
	v_fma_f64 v[43:44], v[43:44], -0.5, v[57:58]
	v_add_f64 v[41:42], v[41:42], v[78:79]
	s_delay_alu instid0(VALU_DEP_2) | instskip(SKIP_1) | instid1(VALU_DEP_3)
	v_fma_f64 v[45:46], v[47:48], s[2:3], v[43:44]
	v_fma_f64 v[43:44], v[47:48], s[14:15], v[43:44]
	v_add_f64 v[41:42], v[41:42], v[82:83]
	s_delay_alu instid0(VALU_DEP_3) | instskip(NEXT) | instid1(VALU_DEP_3)
	v_fma_f64 v[45:46], v[51:52], s[8:9], v[45:46]
	v_fma_f64 v[43:44], v[51:52], s[10:11], v[43:44]
	s_delay_alu instid0(VALU_DEP_2) | instskip(NEXT) | instid1(VALU_DEP_2)
	v_fma_f64 v[45:46], v[49:50], s[4:5], v[45:46]
	v_fma_f64 v[49:50], v[49:50], s[4:5], v[43:44]
	v_add_f64 v[43:44], v[61:62], v[82:83]
	v_add_f64 v[61:62], v[61:62], -v[82:83]
	s_delay_alu instid0(VALU_DEP_2) | instskip(SKIP_3) | instid1(VALU_DEP_4)
	v_fma_f64 v[43:44], v[43:44], -0.5, v[57:58]
	v_add_f64 v[57:58], v[78:79], -v[82:83]
	v_add_f64 v[78:79], v[84:85], -v[80:81]
	v_add_f64 v[82:83], v[24:25], -v[20:21]
	v_fma_f64 v[53:54], v[51:52], s[14:15], v[43:44]
	v_fma_f64 v[43:44], v[51:52], s[2:3], v[43:44]
	v_add_f64 v[55:56], v[55:56], v[57:58]
	s_delay_alu instid0(VALU_DEP_3) | instskip(NEXT) | instid1(VALU_DEP_3)
	v_fma_f64 v[53:54], v[47:48], s[8:9], v[53:54]
	v_fma_f64 v[43:44], v[47:48], s[10:11], v[43:44]
	v_add_f64 v[47:48], v[67:68], v[80:81]
	s_delay_alu instid0(VALU_DEP_3) | instskip(NEXT) | instid1(VALU_DEP_3)
	v_fma_f64 v[53:54], v[55:56], s[4:5], v[53:54]
	v_fma_f64 v[57:58], v[55:56], s[4:5], v[43:44]
	s_delay_alu instid0(VALU_DEP_3) | instskip(SKIP_2) | instid1(VALU_DEP_3)
	v_fma_f64 v[51:52], v[47:48], -0.5, v[59:60]
	v_add_f64 v[55:56], v[63:64], -v[67:68]
	v_add_f64 v[43:44], v[59:60], v[63:64]
	v_fma_f64 v[47:48], v[61:62], s[14:15], v[51:52]
	v_fma_f64 v[51:52], v[61:62], s[2:3], v[51:52]
	s_delay_alu instid0(VALU_DEP_4) | instskip(NEXT) | instid1(VALU_DEP_4)
	v_add_f64 v[55:56], v[55:56], v[78:79]
	v_add_f64 v[43:44], v[43:44], v[67:68]
	v_add_f64 v[78:79], v[28:29], -v[32:33]
	v_fma_f64 v[47:48], v[65:66], s[10:11], v[47:48]
	v_fma_f64 v[51:52], v[65:66], s[8:9], v[51:52]
	s_delay_alu instid0(VALU_DEP_4) | instskip(NEXT) | instid1(VALU_DEP_4)
	v_add_f64 v[43:44], v[43:44], v[80:81]
	v_add_f64 v[78:79], v[78:79], v[82:83]
	v_add_f64 v[82:83], v[32:33], -v[28:29]
	v_fma_f64 v[47:48], v[55:56], s[4:5], v[47:48]
	v_fma_f64 v[51:52], v[55:56], s[4:5], v[51:52]
	v_add_f64 v[55:56], v[63:64], v[84:85]
	v_add_f64 v[63:64], v[67:68], -v[63:64]
	v_add_f64 v[67:68], v[80:81], -v[84:85]
	;; [unrolled: 1-line block ×3, first 2 shown]
	v_add_f64 v[43:44], v[43:44], v[84:85]
	v_add_f64 v[84:85], v[20:21], -v[24:25]
	v_fma_f64 v[59:60], v[55:56], -0.5, v[59:60]
	v_add_f64 v[63:64], v[63:64], v[67:68]
	v_add_f64 v[67:68], v[30:31], -v[26:27]
	s_delay_alu instid0(VALU_DEP_4) | instskip(NEXT) | instid1(VALU_DEP_4)
	v_add_f64 v[82:83], v[82:83], v[84:85]
	v_fma_f64 v[55:56], v[65:66], s[2:3], v[59:60]
	v_fma_f64 v[59:60], v[65:66], s[14:15], v[59:60]
	s_delay_alu instid0(VALU_DEP_2) | instskip(NEXT) | instid1(VALU_DEP_2)
	v_fma_f64 v[55:56], v[61:62], s[10:11], v[55:56]
	v_fma_f64 v[59:60], v[61:62], s[8:9], v[59:60]
	v_add_f64 v[61:62], v[36:37], v[28:29]
	s_delay_alu instid0(VALU_DEP_3) | instskip(NEXT) | instid1(VALU_DEP_3)
	v_fma_f64 v[55:56], v[63:64], s[4:5], v[55:56]
	v_fma_f64 v[59:60], v[63:64], s[4:5], v[59:60]
	v_add_f64 v[63:64], v[32:33], v[20:21]
	s_delay_alu instid0(VALU_DEP_4) | instskip(NEXT) | instid1(VALU_DEP_2)
	v_add_f64 v[61:62], v[61:62], v[32:33]
	v_fma_f64 v[63:64], v[63:64], -0.5, v[36:37]
	s_delay_alu instid0(VALU_DEP_2) | instskip(SKIP_2) | instid1(VALU_DEP_4)
	v_add_f64 v[61:62], v[61:62], v[20:21]
	v_add_f64 v[20:21], v[32:33], -v[20:21]
	v_add_f64 v[32:33], v[30:31], -v[34:35]
	v_fma_f64 v[65:66], v[67:68], s[2:3], v[63:64]
	v_fma_f64 v[63:64], v[67:68], s[14:15], v[63:64]
	v_add_f64 v[61:62], v[61:62], v[24:25]
	s_delay_alu instid0(VALU_DEP_3) | instskip(NEXT) | instid1(VALU_DEP_3)
	v_fma_f64 v[65:66], v[80:81], s[8:9], v[65:66]
	v_fma_f64 v[63:64], v[80:81], s[10:11], v[63:64]
	s_delay_alu instid0(VALU_DEP_2) | instskip(NEXT) | instid1(VALU_DEP_2)
	v_fma_f64 v[65:66], v[78:79], s[4:5], v[65:66]
	v_fma_f64 v[78:79], v[78:79], s[4:5], v[63:64]
	v_add_f64 v[63:64], v[28:29], v[24:25]
	v_add_f64 v[24:25], v[28:29], -v[24:25]
	s_delay_alu instid0(VALU_DEP_2) | instskip(NEXT) | instid1(VALU_DEP_1)
	v_fma_f64 v[63:64], v[63:64], -0.5, v[36:37]
	v_fma_f64 v[36:37], v[80:81], s[14:15], v[63:64]
	v_fma_f64 v[63:64], v[80:81], s[2:3], v[63:64]
	s_delay_alu instid0(VALU_DEP_2) | instskip(NEXT) | instid1(VALU_DEP_2)
	v_fma_f64 v[36:37], v[67:68], s[8:9], v[36:37]
	v_fma_f64 v[63:64], v[67:68], s[10:11], v[63:64]
	v_add_f64 v[67:68], v[34:35], v[22:23]
	s_delay_alu instid0(VALU_DEP_3) | instskip(NEXT) | instid1(VALU_DEP_3)
	v_fma_f64 v[36:37], v[82:83], s[4:5], v[36:37]
	v_fma_f64 v[82:83], v[82:83], s[4:5], v[63:64]
	s_delay_alu instid0(VALU_DEP_3) | instskip(SKIP_2) | instid1(VALU_DEP_3)
	v_fma_f64 v[80:81], v[67:68], -0.5, v[38:39]
	v_add_f64 v[67:68], v[26:27], -v[22:23]
	v_add_f64 v[63:64], v[38:39], v[30:31]
	v_fma_f64 v[28:29], v[24:25], s[14:15], v[80:81]
	s_delay_alu instid0(VALU_DEP_3) | instskip(NEXT) | instid1(VALU_DEP_3)
	v_add_f64 v[32:33], v[32:33], v[67:68]
	v_add_f64 v[63:64], v[63:64], v[34:35]
	s_delay_alu instid0(VALU_DEP_3) | instskip(NEXT) | instid1(VALU_DEP_2)
	v_fma_f64 v[28:29], v[20:21], s[10:11], v[28:29]
	v_add_f64 v[63:64], v[63:64], v[22:23]
	v_add_f64 v[22:23], v[22:23], -v[26:27]
	s_delay_alu instid0(VALU_DEP_3) | instskip(SKIP_1) | instid1(VALU_DEP_4)
	v_fma_f64 v[67:68], v[32:33], s[4:5], v[28:29]
	v_fma_f64 v[28:29], v[24:25], s[2:3], v[80:81]
	v_add_f64 v[63:64], v[63:64], v[26:27]
	s_delay_alu instid0(VALU_DEP_2) | instskip(NEXT) | instid1(VALU_DEP_1)
	v_fma_f64 v[28:29], v[20:21], s[8:9], v[28:29]
	v_fma_f64 v[80:81], v[32:33], s[4:5], v[28:29]
	v_add_f64 v[28:29], v[30:31], v[26:27]
	v_add_f64 v[30:31], v[34:35], -v[30:31]
	s_delay_alu instid0(VALU_DEP_2) | instskip(NEXT) | instid1(VALU_DEP_2)
	v_fma_f64 v[28:29], v[28:29], -0.5, v[38:39]
	v_add_f64 v[22:23], v[30:31], v[22:23]
	s_delay_alu instid0(VALU_DEP_2) | instskip(SKIP_1) | instid1(VALU_DEP_2)
	v_fma_f64 v[32:33], v[20:21], s[2:3], v[28:29]
	v_fma_f64 v[20:21], v[20:21], s[14:15], v[28:29]
	;; [unrolled: 1-line block ×3, first 2 shown]
	s_delay_alu instid0(VALU_DEP_2) | instskip(NEXT) | instid1(VALU_DEP_2)
	v_fma_f64 v[20:21], v[24:25], s[8:9], v[20:21]
	v_fma_f64 v[38:39], v[22:23], s[4:5], v[32:33]
	s_delay_alu instid0(VALU_DEP_2) | instskip(SKIP_1) | instid1(VALU_DEP_1)
	v_fma_f64 v[84:85], v[22:23], s[4:5], v[20:21]
	v_mul_lo_u16 v20, v75, 5
	v_and_b32_e32 v20, 0xffff, v20
	s_delay_alu instid0(VALU_DEP_1)
	v_lshlrev_b32_e32 v20, 4, v20
	scratch_store_b32 off, v20, off offset:256 ; 4-byte Folded Spill
	ds_store_b128 v20, v[0:3]
	ds_store_b128 v20, v[4:7] offset:16
	ds_store_b128 v20, v[12:15] offset:32
	;; [unrolled: 1-line block ×4, first 2 shown]
	v_mul_u32_u24_e32 v0, 5, v70
	s_delay_alu instid0(VALU_DEP_1)
	v_lshlrev_b32_e32 v0, 4, v0
	scratch_store_b32 off, v0, off offset:252 ; 4-byte Folded Spill
	ds_store_b128 v0, v[41:44]
	ds_store_b128 v0, v[45:48] offset:16
	ds_store_b128 v0, v[53:56] offset:32
	ds_store_b128 v0, v[57:60] offset:48
	ds_store_b128 v0, v[49:52] offset:64
	v_mul_u32_u24_e32 v0, 5, v76
	v_and_b32_e32 v41, 0xff, v75
	s_delay_alu instid0(VALU_DEP_2) | instskip(NEXT) | instid1(VALU_DEP_2)
	v_lshlrev_b32_e32 v0, 4, v0
	v_mul_lo_u16 v20, 0xcd, v41
	v_mul_lo_u16 v41, v41, 41
	scratch_store_b32 off, v0, off offset:248 ; 4-byte Folded Spill
	ds_store_b128 v0, v[61:64]
	ds_store_b128 v0, v[65:68] offset:16
	ds_store_b128 v0, v[36:39] offset:32
	;; [unrolled: 1-line block ×4, first 2 shown]
	v_lshrrev_b16 v80, 10, v20
	s_waitcnt lgkmcnt(0)
	s_waitcnt_vscnt null, 0x0
	s_barrier
	buffer_gl0_inv
	ds_load_b128 v[8:11], v40
	ds_load_b128 v[24:27], v40 offset:10800
	ds_load_b128 v[28:31], v40 offset:21600
	;; [unrolled: 1-line block ×14, first 2 shown]
	v_mul_lo_u16 v20, v80, 5
	v_and_b32_e32 v78, 0xffff, v70
	v_and_b32_e32 v79, 0xffff, v76
	v_lshrrev_b16 v41, 10, v41
	s_delay_alu instid0(VALU_DEP_4) | instskip(NEXT) | instid1(VALU_DEP_1)
	v_sub_nc_u16 v20, v75, v20
	v_and_b32_e32 v81, 0xff, v20
	s_delay_alu instid0(VALU_DEP_1)
	v_lshlrev_b32_e32 v20, 6, v81
	s_clause 0x3
	global_load_b128 v[36:39], v20, s[6:7] offset:16
	global_load_b128 v[32:35], v20, s[6:7]
	global_load_b128 v[50:53], v20, s[6:7] offset:48
	global_load_b128 v[54:57], v20, s[6:7] offset:32
	s_waitcnt vmcnt(3)
	scratch_store_b128 off, v[36:39], off offset:292 ; 16-byte Folded Spill
	s_waitcnt vmcnt(2)
	scratch_store_b128 off, v[32:35], off offset:308 ; 16-byte Folded Spill
	s_waitcnt lgkmcnt(13)
	v_mul_f64 v[20:21], v[26:27], v[34:35]
	s_waitcnt vmcnt(1)
	scratch_store_b128 off, v[50:53], off offset:260 ; 16-byte Folded Spill
	s_waitcnt vmcnt(0)
	scratch_store_b128 off, v[54:57], off offset:276 ; 16-byte Folded Spill
	v_fma_f64 v[22:23], v[24:25], v[32:33], -v[20:21]
	v_mul_f64 v[20:21], v[24:25], v[34:35]
	s_delay_alu instid0(VALU_DEP_1) | instskip(SKIP_2) | instid1(VALU_DEP_1)
	v_fma_f64 v[26:27], v[26:27], v[32:33], v[20:21]
	s_waitcnt lgkmcnt(12)
	v_mul_f64 v[20:21], v[30:31], v[38:39]
	v_fma_f64 v[34:35], v[28:29], v[36:37], -v[20:21]
	v_mul_f64 v[20:21], v[28:29], v[38:39]
	s_delay_alu instid0(VALU_DEP_1) | instskip(SKIP_2) | instid1(VALU_DEP_1)
	v_fma_f64 v[28:29], v[30:31], v[36:37], v[20:21]
	s_waitcnt lgkmcnt(11)
	v_mul_f64 v[20:21], v[44:45], v[56:57]
	v_fma_f64 v[36:37], v[42:43], v[54:55], -v[20:21]
	v_mul_f64 v[20:21], v[42:43], v[56:57]
	s_delay_alu instid0(VALU_DEP_1) | instskip(SKIP_2) | instid1(VALU_DEP_2)
	v_fma_f64 v[30:31], v[44:45], v[54:55], v[20:21]
	s_waitcnt lgkmcnt(10)
	v_mul_f64 v[20:21], v[48:49], v[52:53]
	v_add_f64 v[24:25], v[28:29], -v[30:31]
	s_delay_alu instid0(VALU_DEP_2) | instskip(SKIP_1) | instid1(VALU_DEP_1)
	v_fma_f64 v[38:39], v[46:47], v[50:51], -v[20:21]
	v_mul_f64 v[20:21], v[46:47], v[52:53]
	v_fma_f64 v[32:33], v[48:49], v[50:51], v[20:21]
	v_mul_u32_u24_e32 v20, 0xcccd, v78
	s_delay_alu instid0(VALU_DEP_1) | instskip(NEXT) | instid1(VALU_DEP_1)
	v_lshrrev_b32_e32 v82, 18, v20
	v_mul_lo_u16 v20, v82, 5
	s_delay_alu instid0(VALU_DEP_1) | instskip(NEXT) | instid1(VALU_DEP_1)
	v_sub_nc_u16 v83, v70, v20
	v_lshlrev_b16 v20, 2, v83
	s_delay_alu instid0(VALU_DEP_1) | instskip(NEXT) | instid1(VALU_DEP_1)
	v_and_b32_e32 v20, 0xffff, v20
	v_lshlrev_b32_e32 v20, 4, v20
	s_clause 0x3
	global_load_b128 v[60:63], v20, s[6:7] offset:16
	global_load_b128 v[46:49], v20, s[6:7]
	global_load_b128 v[42:45], v20, s[6:7] offset:48
	global_load_b128 v[52:55], v20, s[6:7] offset:32
	s_waitcnt vmcnt(3)
	scratch_store_b128 off, v[60:63], off offset:360 ; 16-byte Folded Spill
	s_waitcnt vmcnt(2)
	scratch_store_b128 off, v[46:49], off offset:376 ; 16-byte Folded Spill
	s_waitcnt lgkmcnt(8)
	v_mul_f64 v[20:21], v[110:111], v[48:49]
	s_waitcnt vmcnt(1)
	scratch_store_b128 off, v[42:45], off offset:344 ; 16-byte Folded Spill
	s_waitcnt vmcnt(0)
	scratch_store_b128 off, v[52:55], off offset:328 ; 16-byte Folded Spill
	v_fma_f64 v[56:57], v[108:109], v[46:47], -v[20:21]
	v_mul_f64 v[20:21], v[108:109], v[48:49]
	s_delay_alu instid0(VALU_DEP_1) | instskip(SKIP_2) | instid1(VALU_DEP_1)
	v_fma_f64 v[46:47], v[110:111], v[46:47], v[20:21]
	s_waitcnt lgkmcnt(7)
	v_mul_f64 v[20:21], v[102:103], v[62:63]
	v_fma_f64 v[58:59], v[100:101], v[60:61], -v[20:21]
	v_mul_f64 v[20:21], v[100:101], v[62:63]
	s_delay_alu instid0(VALU_DEP_1) | instskip(SKIP_2) | instid1(VALU_DEP_1)
	v_fma_f64 v[48:49], v[102:103], v[60:61], v[20:21]
	s_waitcnt lgkmcnt(6)
	v_mul_f64 v[20:21], v[98:99], v[54:55]
	v_fma_f64 v[60:61], v[96:97], v[52:53], -v[20:21]
	v_mul_f64 v[20:21], v[96:97], v[54:55]
	s_delay_alu instid0(VALU_DEP_1) | instskip(SKIP_2) | instid1(VALU_DEP_1)
	v_fma_f64 v[50:51], v[98:99], v[52:53], v[20:21]
	s_waitcnt lgkmcnt(5)
	v_mul_f64 v[20:21], v[94:95], v[44:45]
	v_fma_f64 v[62:63], v[92:93], v[42:43], -v[20:21]
	v_mul_f64 v[20:21], v[92:93], v[44:45]
	s_delay_alu instid0(VALU_DEP_1) | instskip(SKIP_1) | instid1(VALU_DEP_1)
	v_fma_f64 v[52:53], v[94:95], v[42:43], v[20:21]
	v_mul_u32_u24_e32 v20, 0xcccd, v79
	v_lshrrev_b32_e32 v84, 18, v20
	s_delay_alu instid0(VALU_DEP_1) | instskip(NEXT) | instid1(VALU_DEP_1)
	v_mul_lo_u16 v20, v84, 5
	v_sub_nc_u16 v85, v76, v20
	s_delay_alu instid0(VALU_DEP_1) | instskip(NEXT) | instid1(VALU_DEP_1)
	v_lshlrev_b16 v20, 2, v85
	v_and_b32_e32 v20, 0xffff, v20
	s_delay_alu instid0(VALU_DEP_1)
	v_lshlrev_b32_e32 v20, 4, v20
	s_clause 0x3
	global_load_b128 v[86:89], v20, s[6:7] offset:48
	global_load_b128 v[92:95], v20, s[6:7] offset:32
	;; [unrolled: 1-line block ×3, first 2 shown]
	global_load_b128 v[108:111], v20, s[6:7]
	s_waitcnt vmcnt(3)
	scratch_store_b128 off, v[86:89], off offset:448 ; 16-byte Folded Spill
	s_waitcnt vmcnt(2)
	scratch_store_b128 off, v[92:95], off offset:432 ; 16-byte Folded Spill
	;; [unrolled: 2-line block ×3, first 2 shown]
	s_waitcnt vmcnt(0) lgkmcnt(3)
	v_mul_f64 v[20:21], v[114:115], v[110:111]
	s_waitcnt lgkmcnt(0)
	s_waitcnt_vscnt null, 0x0
	s_barrier
	buffer_gl0_inv
	v_fma_f64 v[64:65], v[112:113], v[108:109], -v[20:21]
	v_mul_f64 v[20:21], v[112:113], v[110:111]
	s_delay_alu instid0(VALU_DEP_1) | instskip(SKIP_1) | instid1(VALU_DEP_1)
	v_fma_f64 v[68:69], v[114:115], v[108:109], v[20:21]
	v_mul_f64 v[20:21], v[106:107], v[98:99]
	v_fma_f64 v[66:67], v[104:105], v[96:97], -v[20:21]
	v_mul_f64 v[20:21], v[104:105], v[98:99]
	s_delay_alu instid0(VALU_DEP_1) | instskip(SKIP_2) | instid1(VALU_DEP_2)
	v_fma_f64 v[42:43], v[106:107], v[96:97], v[20:21]
	v_mul_f64 v[20:21], v[18:19], v[94:95]
	v_mov_b32_e32 v106, v188
	v_fma_f64 v[90:91], v[16:17], v[92:93], -v[20:21]
	v_mul_f64 v[16:17], v[16:17], v[94:95]
	v_add_f64 v[20:21], v[22:23], -v[34:35]
	s_delay_alu instid0(VALU_DEP_2) | instskip(SKIP_2) | instid1(VALU_DEP_2)
	v_fma_f64 v[44:45], v[18:19], v[92:93], v[16:17]
	v_mul_f64 v[16:17], v[14:15], v[88:89]
	v_add_f64 v[18:19], v[26:27], -v[32:33]
	v_fma_f64 v[92:93], v[12:13], v[86:87], -v[16:17]
	v_mul_f64 v[12:13], v[12:13], v[88:89]
	v_add_f64 v[88:89], v[36:37], -v[38:39]
	s_delay_alu instid0(VALU_DEP_2) | instskip(SKIP_3) | instid1(VALU_DEP_3)
	v_fma_f64 v[54:55], v[14:15], v[86:87], v[12:13]
	v_add_f64 v[14:15], v[34:35], v[36:37]
	v_add_f64 v[86:87], v[38:39], -v[36:37]
	v_add_f64 v[12:13], v[8:9], v[22:23]
	v_fma_f64 v[14:15], v[14:15], -0.5, v[8:9]
	s_delay_alu instid0(VALU_DEP_3) | instskip(NEXT) | instid1(VALU_DEP_3)
	v_add_f64 v[86:87], v[20:21], v[86:87]
	v_add_f64 v[12:13], v[12:13], v[34:35]
	s_delay_alu instid0(VALU_DEP_3) | instskip(SKIP_1) | instid1(VALU_DEP_3)
	v_fma_f64 v[16:17], v[18:19], s[2:3], v[14:15]
	v_fma_f64 v[14:15], v[18:19], s[14:15], v[14:15]
	v_add_f64 v[12:13], v[12:13], v[36:37]
	s_delay_alu instid0(VALU_DEP_3) | instskip(NEXT) | instid1(VALU_DEP_3)
	v_fma_f64 v[16:17], v[24:25], s[8:9], v[16:17]
	v_fma_f64 v[14:15], v[24:25], s[10:11], v[14:15]
	s_delay_alu instid0(VALU_DEP_3) | instskip(NEXT) | instid1(VALU_DEP_3)
	v_add_f64 v[12:13], v[12:13], v[38:39]
	v_fma_f64 v[20:21], v[86:87], s[4:5], v[16:17]
	s_delay_alu instid0(VALU_DEP_3)
	v_fma_f64 v[16:17], v[86:87], s[4:5], v[14:15]
	v_add_f64 v[14:15], v[22:23], v[38:39]
	v_add_f64 v[86:87], v[34:35], -v[22:23]
	v_add_f64 v[38:39], v[22:23], -v[38:39]
	v_add_f64 v[34:35], v[34:35], -v[36:37]
	v_add_f64 v[36:37], v[26:27], -v[28:29]
	v_fma_f64 v[14:15], v[14:15], -0.5, v[8:9]
	v_add_f64 v[86:87], v[86:87], v[88:89]
	v_add_f64 v[88:89], v[60:61], -v[62:63]
	s_delay_alu instid0(VALU_DEP_3) | instskip(SKIP_1) | instid1(VALU_DEP_2)
	v_fma_f64 v[8:9], v[24:25], s[14:15], v[14:15]
	v_fma_f64 v[14:15], v[24:25], s[2:3], v[14:15]
	;; [unrolled: 1-line block ×3, first 2 shown]
	s_delay_alu instid0(VALU_DEP_2) | instskip(SKIP_1) | instid1(VALU_DEP_3)
	v_fma_f64 v[14:15], v[18:19], s[10:11], v[14:15]
	v_add_f64 v[18:19], v[28:29], v[30:31]
	v_fma_f64 v[8:9], v[86:87], s[4:5], v[8:9]
	s_delay_alu instid0(VALU_DEP_3) | instskip(NEXT) | instid1(VALU_DEP_3)
	v_fma_f64 v[24:25], v[86:87], s[4:5], v[14:15]
	v_fma_f64 v[18:19], v[18:19], -0.5, v[10:11]
	v_add_f64 v[86:87], v[32:33], -v[30:31]
	v_add_f64 v[14:15], v[10:11], v[26:27]
	s_delay_alu instid0(VALU_DEP_3) | instskip(SKIP_1) | instid1(VALU_DEP_4)
	v_fma_f64 v[22:23], v[38:39], s[14:15], v[18:19]
	v_fma_f64 v[18:19], v[38:39], s[2:3], v[18:19]
	v_add_f64 v[36:37], v[36:37], v[86:87]
	s_delay_alu instid0(VALU_DEP_4) | instskip(SKIP_3) | instid1(VALU_DEP_4)
	v_add_f64 v[14:15], v[14:15], v[28:29]
	v_add_f64 v[86:87], v[62:63], -v[60:61]
	v_fma_f64 v[22:23], v[34:35], s[10:11], v[22:23]
	v_fma_f64 v[18:19], v[34:35], s[8:9], v[18:19]
	v_add_f64 v[14:15], v[14:15], v[30:31]
	s_delay_alu instid0(VALU_DEP_3) | instskip(NEXT) | instid1(VALU_DEP_3)
	v_fma_f64 v[22:23], v[36:37], s[4:5], v[22:23]
	v_fma_f64 v[18:19], v[36:37], s[4:5], v[18:19]
	v_add_f64 v[36:37], v[26:27], v[32:33]
	v_add_f64 v[26:27], v[28:29], -v[26:27]
	v_add_f64 v[28:29], v[30:31], -v[32:33]
	v_add_f64 v[30:31], v[58:59], v[60:61]
	v_add_f64 v[14:15], v[14:15], v[32:33]
	v_fma_f64 v[36:37], v[36:37], -0.5, v[10:11]
	s_delay_alu instid0(VALU_DEP_4) | instskip(NEXT) | instid1(VALU_DEP_4)
	v_add_f64 v[26:27], v[26:27], v[28:29]
	v_fma_f64 v[30:31], v[30:31], -0.5, v[4:5]
	s_delay_alu instid0(VALU_DEP_3) | instskip(SKIP_3) | instid1(VALU_DEP_4)
	v_fma_f64 v[10:11], v[34:35], s[2:3], v[36:37]
	v_fma_f64 v[28:29], v[34:35], s[14:15], v[36:37]
	v_add_f64 v[34:35], v[46:47], -v[52:53]
	v_add_f64 v[36:37], v[56:57], -v[58:59]
	v_fma_f64 v[10:11], v[38:39], s[10:11], v[10:11]
	s_delay_alu instid0(VALU_DEP_4) | instskip(NEXT) | instid1(VALU_DEP_4)
	v_fma_f64 v[28:29], v[38:39], s[8:9], v[28:29]
	v_fma_f64 v[32:33], v[34:35], s[2:3], v[30:31]
	v_add_f64 v[38:39], v[48:49], -v[50:51]
	v_fma_f64 v[30:31], v[34:35], s[14:15], v[30:31]
	v_add_f64 v[86:87], v[36:37], v[86:87]
	v_fma_f64 v[10:11], v[26:27], s[4:5], v[10:11]
	v_fma_f64 v[26:27], v[26:27], s[4:5], v[28:29]
	v_add_f64 v[28:29], v[4:5], v[56:57]
	v_fma_f64 v[32:33], v[38:39], s[8:9], v[32:33]
	v_fma_f64 v[30:31], v[38:39], s[10:11], v[30:31]
	s_delay_alu instid0(VALU_DEP_3) | instskip(NEXT) | instid1(VALU_DEP_3)
	v_add_f64 v[28:29], v[28:29], v[58:59]
	v_fma_f64 v[36:37], v[86:87], s[4:5], v[32:33]
	s_delay_alu instid0(VALU_DEP_3)
	v_fma_f64 v[32:33], v[86:87], s[4:5], v[30:31]
	v_add_f64 v[30:31], v[56:57], v[62:63]
	v_add_f64 v[86:87], v[58:59], -v[56:57]
	v_add_f64 v[56:57], v[56:57], -v[62:63]
	;; [unrolled: 1-line block ×3, first 2 shown]
	v_add_f64 v[28:29], v[28:29], v[60:61]
	v_add_f64 v[60:61], v[46:47], -v[48:49]
	v_fma_f64 v[30:31], v[30:31], -0.5, v[4:5]
	v_add_f64 v[86:87], v[86:87], v[88:89]
	s_delay_alu instid0(VALU_DEP_4) | instskip(SKIP_1) | instid1(VALU_DEP_4)
	v_add_f64 v[28:29], v[28:29], v[62:63]
	v_add_f64 v[62:63], v[52:53], -v[50:51]
	v_fma_f64 v[4:5], v[38:39], s[14:15], v[30:31]
	v_fma_f64 v[30:31], v[38:39], s[2:3], v[30:31]
	s_delay_alu instid0(VALU_DEP_3) | instskip(SKIP_1) | instid1(VALU_DEP_4)
	v_add_f64 v[60:61], v[60:61], v[62:63]
	v_add_f64 v[62:63], v[90:91], -v[92:93]
	v_fma_f64 v[4:5], v[34:35], s[8:9], v[4:5]
	s_delay_alu instid0(VALU_DEP_4) | instskip(SKIP_1) | instid1(VALU_DEP_3)
	v_fma_f64 v[30:31], v[34:35], s[10:11], v[30:31]
	v_add_f64 v[34:35], v[48:49], v[50:51]
	v_fma_f64 v[4:5], v[86:87], s[4:5], v[4:5]
	s_delay_alu instid0(VALU_DEP_3) | instskip(NEXT) | instid1(VALU_DEP_3)
	v_fma_f64 v[86:87], v[86:87], s[4:5], v[30:31]
	v_fma_f64 v[34:35], v[34:35], -0.5, v[6:7]
	v_add_f64 v[30:31], v[6:7], v[46:47]
	s_delay_alu instid0(VALU_DEP_2) | instskip(SKIP_1) | instid1(VALU_DEP_3)
	v_fma_f64 v[38:39], v[56:57], s[14:15], v[34:35]
	v_fma_f64 v[34:35], v[56:57], s[2:3], v[34:35]
	v_add_f64 v[30:31], v[30:31], v[48:49]
	s_delay_alu instid0(VALU_DEP_3) | instskip(NEXT) | instid1(VALU_DEP_3)
	v_fma_f64 v[38:39], v[58:59], s[10:11], v[38:39]
	v_fma_f64 v[34:35], v[58:59], s[8:9], v[34:35]
	s_delay_alu instid0(VALU_DEP_3) | instskip(NEXT) | instid1(VALU_DEP_3)
	v_add_f64 v[30:31], v[30:31], v[50:51]
	v_fma_f64 v[38:39], v[60:61], s[4:5], v[38:39]
	s_delay_alu instid0(VALU_DEP_3)
	v_fma_f64 v[34:35], v[60:61], s[4:5], v[34:35]
	v_add_f64 v[60:61], v[46:47], v[52:53]
	v_add_f64 v[46:47], v[48:49], -v[46:47]
	v_add_f64 v[48:49], v[50:51], -v[52:53]
	v_add_f64 v[30:31], v[30:31], v[52:53]
	v_add_f64 v[52:53], v[68:69], -v[54:55]
	v_fma_f64 v[60:61], v[60:61], -0.5, v[6:7]
	s_delay_alu instid0(VALU_DEP_4) | instskip(NEXT) | instid1(VALU_DEP_2)
	v_add_f64 v[46:47], v[46:47], v[48:49]
	v_fma_f64 v[48:49], v[58:59], s[14:15], v[60:61]
	v_fma_f64 v[6:7], v[58:59], s[2:3], v[60:61]
	v_add_f64 v[58:59], v[42:43], -v[44:45]
	v_add_f64 v[60:61], v[92:93], -v[90:91]
	s_delay_alu instid0(VALU_DEP_4) | instskip(NEXT) | instid1(VALU_DEP_4)
	v_fma_f64 v[48:49], v[56:57], s[8:9], v[48:49]
	v_fma_f64 v[6:7], v[56:57], s[10:11], v[6:7]
	v_add_f64 v[56:57], v[64:65], -v[66:67]
	s_delay_alu instid0(VALU_DEP_3) | instskip(SKIP_1) | instid1(VALU_DEP_3)
	v_fma_f64 v[88:89], v[46:47], s[4:5], v[48:49]
	v_add_f64 v[48:49], v[66:67], v[90:91]
	v_add_f64 v[56:57], v[56:57], v[60:61]
	v_fma_f64 v[6:7], v[46:47], s[4:5], v[6:7]
	v_add_f64 v[46:47], v[0:1], v[64:65]
	v_add_f64 v[60:61], v[66:67], -v[64:65]
	v_fma_f64 v[48:49], v[48:49], -0.5, v[0:1]
	s_delay_alu instid0(VALU_DEP_3) | instskip(NEXT) | instid1(VALU_DEP_3)
	v_add_f64 v[46:47], v[46:47], v[66:67]
	v_add_f64 v[60:61], v[60:61], v[62:63]
	v_add_f64 v[62:63], v[64:65], -v[92:93]
	s_delay_alu instid0(VALU_DEP_4) | instskip(SKIP_2) | instid1(VALU_DEP_3)
	v_fma_f64 v[50:51], v[52:53], s[2:3], v[48:49]
	v_fma_f64 v[48:49], v[52:53], s[14:15], v[48:49]
	v_add_f64 v[46:47], v[46:47], v[90:91]
	v_fma_f64 v[50:51], v[58:59], s[8:9], v[50:51]
	s_delay_alu instid0(VALU_DEP_3) | instskip(NEXT) | instid1(VALU_DEP_3)
	v_fma_f64 v[48:49], v[58:59], s[10:11], v[48:49]
	v_add_f64 v[46:47], v[46:47], v[92:93]
	s_delay_alu instid0(VALU_DEP_3) | instskip(NEXT) | instid1(VALU_DEP_3)
	v_fma_f64 v[50:51], v[56:57], s[4:5], v[50:51]
	v_fma_f64 v[56:57], v[56:57], s[4:5], v[48:49]
	v_add_f64 v[48:49], v[64:65], v[92:93]
	v_add_f64 v[64:65], v[66:67], -v[90:91]
	v_add_f64 v[66:67], v[68:69], -v[42:43]
	v_add_f64 v[90:91], v[54:55], -v[44:45]
	v_mov_b32_e32 v93, v71
	v_fma_f64 v[48:49], v[48:49], -0.5, v[0:1]
	s_delay_alu instid0(VALU_DEP_3) | instskip(NEXT) | instid1(VALU_DEP_2)
	v_add_f64 v[66:67], v[66:67], v[90:91]
	v_fma_f64 v[0:1], v[58:59], s[14:15], v[48:49]
	v_fma_f64 v[48:49], v[58:59], s[2:3], v[48:49]
	s_delay_alu instid0(VALU_DEP_2) | instskip(NEXT) | instid1(VALU_DEP_2)
	v_fma_f64 v[0:1], v[52:53], s[8:9], v[0:1]
	v_fma_f64 v[48:49], v[52:53], s[10:11], v[48:49]
	v_add_f64 v[52:53], v[42:43], v[44:45]
	s_delay_alu instid0(VALU_DEP_3) | instskip(NEXT) | instid1(VALU_DEP_3)
	v_fma_f64 v[0:1], v[60:61], s[4:5], v[0:1]
	v_fma_f64 v[60:61], v[60:61], s[4:5], v[48:49]
	s_delay_alu instid0(VALU_DEP_3) | instskip(SKIP_1) | instid1(VALU_DEP_2)
	v_fma_f64 v[58:59], v[52:53], -0.5, v[2:3]
	v_add_f64 v[48:49], v[2:3], v[68:69]
	v_fma_f64 v[52:53], v[62:63], s[14:15], v[58:59]
	v_fma_f64 v[58:59], v[62:63], s[2:3], v[58:59]
	s_delay_alu instid0(VALU_DEP_3) | instskip(SKIP_1) | instid1(VALU_DEP_4)
	v_add_f64 v[48:49], v[48:49], v[42:43]
	v_add_f64 v[42:43], v[42:43], -v[68:69]
	v_fma_f64 v[52:53], v[64:65], s[10:11], v[52:53]
	s_delay_alu instid0(VALU_DEP_4) | instskip(NEXT) | instid1(VALU_DEP_4)
	v_fma_f64 v[58:59], v[64:65], s[8:9], v[58:59]
	v_add_f64 v[48:49], v[48:49], v[44:45]
	v_add_f64 v[44:45], v[44:45], -v[54:55]
	s_delay_alu instid0(VALU_DEP_4) | instskip(NEXT) | instid1(VALU_DEP_4)
	v_fma_f64 v[52:53], v[66:67], s[4:5], v[52:53]
	v_fma_f64 v[58:59], v[66:67], s[4:5], v[58:59]
	v_add_f64 v[66:67], v[68:69], v[54:55]
	s_delay_alu instid0(VALU_DEP_4) | instskip(SKIP_1) | instid1(VALU_DEP_3)
	v_add_f64 v[42:43], v[42:43], v[44:45]
	v_add_f64 v[48:49], v[48:49], v[54:55]
	v_fma_f64 v[66:67], v[66:67], -0.5, v[2:3]
	s_delay_alu instid0(VALU_DEP_1) | instskip(SKIP_1) | instid1(VALU_DEP_2)
	v_fma_f64 v[2:3], v[64:65], s[2:3], v[66:67]
	v_fma_f64 v[44:45], v[64:65], s[14:15], v[66:67]
	;; [unrolled: 1-line block ×3, first 2 shown]
	s_delay_alu instid0(VALU_DEP_2) | instskip(NEXT) | instid1(VALU_DEP_2)
	v_fma_f64 v[44:45], v[62:63], s[8:9], v[44:45]
	v_fma_f64 v[2:3], v[42:43], s[4:5], v[2:3]
	s_delay_alu instid0(VALU_DEP_2) | instskip(SKIP_1) | instid1(VALU_DEP_1)
	v_fma_f64 v[62:63], v[42:43], s[4:5], v[44:45]
	v_and_b32_e32 v42, 0xffff, v80
	v_mul_u32_u24_e32 v42, 25, v42
	s_delay_alu instid0(VALU_DEP_1)
	v_add_lshl_u32 v42, v42, v81, 4
	scratch_store_b32 off, v42, off offset:464 ; 4-byte Folded Spill
	ds_store_b128 v42, v[12:15]
	ds_store_b128 v42, v[20:23] offset:80
	ds_store_b128 v42, v[8:11] offset:160
	;; [unrolled: 1-line block ×4, first 2 shown]
	v_mad_u16 v8, v82, 25, v83
	v_mul_lo_u16 v42, v41, 25
	s_delay_alu instid0(VALU_DEP_2) | instskip(NEXT) | instid1(VALU_DEP_2)
	v_and_b32_e32 v8, 0xffff, v8
	v_sub_nc_u16 v42, v75, v42
	s_delay_alu instid0(VALU_DEP_2) | instskip(NEXT) | instid1(VALU_DEP_2)
	v_lshlrev_b32_e32 v8, 4, v8
	v_and_b32_e32 v80, 0xff, v42
	scratch_store_b32 off, v8, off offset:412 ; 4-byte Folded Spill
	ds_store_b128 v8, v[28:31]
	ds_store_b128 v8, v[36:39] offset:80
	ds_store_b128 v8, v[4:7] offset:160
	;; [unrolled: 1-line block ×4, first 2 shown]
	v_mad_u16 v4, v84, 25, v85
	v_lshlrev_b32_e32 v42, 6, v80
	s_delay_alu instid0(VALU_DEP_2) | instskip(NEXT) | instid1(VALU_DEP_1)
	v_and_b32_e32 v4, 0xffff, v4
	v_lshlrev_b32_e32 v4, 4, v4
	scratch_store_b32 off, v4, off offset:392 ; 4-byte Folded Spill
	ds_store_b128 v4, v[46:49]
	ds_store_b128 v4, v[50:53] offset:80
	ds_store_b128 v4, v[0:3] offset:160
	ds_store_b128 v4, v[60:63] offset:240
	ds_store_b128 v4, v[56:59] offset:320
	s_waitcnt lgkmcnt(0)
	s_waitcnt_vscnt null, 0x0
	s_barrier
	buffer_gl0_inv
	ds_load_b128 v[8:11], v40
	ds_load_b128 v[28:31], v40 offset:10800
	ds_load_b128 v[32:35], v40 offset:21600
	;; [unrolled: 1-line block ×14, first 2 shown]
	s_clause 0x3
	global_load_b128 v[81:84], v42, s[6:7] offset:368
	global_load_b128 v[112:115], v42, s[6:7] offset:352
	;; [unrolled: 1-line block ×4, first 2 shown]
	s_waitcnt vmcnt(3)
	scratch_store_b128 off, v[81:84], off offset:396 ; 16-byte Folded Spill
	s_waitcnt vmcnt(0) lgkmcnt(13)
	v_mul_f64 v[42:43], v[30:31], v[122:123]
	s_delay_alu instid0(VALU_DEP_1) | instskip(SKIP_1) | instid1(VALU_DEP_1)
	v_fma_f64 v[85:86], v[28:29], v[120:121], -v[42:43]
	v_mul_f64 v[28:29], v[28:29], v[122:123]
	v_fma_f64 v[44:45], v[30:31], v[120:121], v[28:29]
	s_waitcnt lgkmcnt(12)
	v_mul_f64 v[28:29], v[34:35], v[118:119]
	s_delay_alu instid0(VALU_DEP_1) | instskip(SKIP_1) | instid1(VALU_DEP_1)
	v_fma_f64 v[87:88], v[32:33], v[116:117], -v[28:29]
	v_mul_f64 v[28:29], v[32:33], v[118:119]
	v_fma_f64 v[48:49], v[34:35], v[116:117], v[28:29]
	s_waitcnt lgkmcnt(11)
	;; [unrolled: 6-line block ×3, first 2 shown]
	v_mul_f64 v[28:29], v[52:53], v[83:84]
	s_delay_alu instid0(VALU_DEP_1) | instskip(SKIP_1) | instid1(VALU_DEP_1)
	v_fma_f64 v[91:92], v[50:51], v[81:82], -v[28:29]
	v_mul_f64 v[28:29], v[50:51], v[83:84]
	v_fma_f64 v[50:51], v[52:53], v[81:82], v[28:29]
	v_mul_u32_u24_e32 v28, 0x47af, v78
	s_delay_alu instid0(VALU_DEP_1) | instskip(NEXT) | instid1(VALU_DEP_1)
	v_lshrrev_b32_e32 v28, 16, v28
	v_sub_nc_u16 v29, v70, v28
	s_delay_alu instid0(VALU_DEP_1) | instskip(NEXT) | instid1(VALU_DEP_1)
	v_lshrrev_b16 v29, 1, v29
	v_add_nc_u16 v28, v29, v28
	s_delay_alu instid0(VALU_DEP_1) | instskip(NEXT) | instid1(VALU_DEP_1)
	v_lshrrev_b16 v81, 4, v28
	v_mul_lo_u16 v28, v81, 25
	s_delay_alu instid0(VALU_DEP_1) | instskip(NEXT) | instid1(VALU_DEP_1)
	v_sub_nc_u16 v82, v70, v28
	v_lshlrev_b16 v28, 6, v82
	s_delay_alu instid0(VALU_DEP_1) | instskip(NEXT) | instid1(VALU_DEP_1)
	v_and_b32_e32 v28, 0xffff, v28
	v_add_co_u32 v28, s16, s6, v28
	s_delay_alu instid0(VALU_DEP_1)
	v_add_co_ci_u32_e64 v29, null, s7, 0, s16
	s_clause 0x3
	global_load_b128 v[124:127], v[28:29], off offset:368
	global_load_b128 v[128:131], v[28:29], off offset:352
	;; [unrolled: 1-line block ×4, first 2 shown]
	s_waitcnt vmcnt(3) lgkmcnt(5)
	v_mul_f64 v[34:35], v[68:69], v[126:127]
	s_waitcnt vmcnt(2)
	v_mul_f64 v[32:33], v[64:65], v[130:131]
	s_waitcnt vmcnt(1)
	v_mul_f64 v[30:31], v[60:61], v[138:139]
	s_waitcnt vmcnt(0)
	v_mul_f64 v[28:29], v[56:57], v[146:147]
	s_delay_alu instid0(VALU_DEP_1) | instskip(SKIP_1) | instid1(VALU_DEP_1)
	v_fma_f64 v[52:53], v[54:55], v[144:145], -v[28:29]
	v_mul_f64 v[28:29], v[54:55], v[146:147]
	v_fma_f64 v[28:29], v[56:57], v[144:145], v[28:29]
	v_fma_f64 v[56:57], v[58:59], v[136:137], -v[30:31]
	v_mul_f64 v[30:31], v[58:59], v[138:139]
	s_delay_alu instid0(VALU_DEP_1) | instskip(SKIP_2) | instid1(VALU_DEP_1)
	v_fma_f64 v[30:31], v[60:61], v[136:137], v[30:31]
	v_fma_f64 v[60:61], v[62:63], v[128:129], -v[32:33]
	v_mul_f64 v[32:33], v[62:63], v[130:131]
	v_fma_f64 v[32:33], v[64:65], v[128:129], v[32:33]
	v_fma_f64 v[64:65], v[66:67], v[124:125], -v[34:35]
	v_mul_f64 v[34:35], v[66:67], v[126:127]
	s_delay_alu instid0(VALU_DEP_1) | instskip(SKIP_1) | instid1(VALU_DEP_1)
	v_fma_f64 v[36:37], v[68:69], v[124:125], v[34:35]
	v_mul_u32_u24_e32 v34, 0x47af, v79
	v_lshrrev_b32_e32 v34, 16, v34
	s_delay_alu instid0(VALU_DEP_1) | instskip(NEXT) | instid1(VALU_DEP_1)
	v_sub_nc_u16 v35, v76, v34
	v_lshrrev_b16 v35, 1, v35
	s_delay_alu instid0(VALU_DEP_1) | instskip(NEXT) | instid1(VALU_DEP_1)
	v_add_nc_u16 v34, v35, v34
	v_lshrrev_b16 v83, 4, v34
	s_delay_alu instid0(VALU_DEP_1) | instskip(NEXT) | instid1(VALU_DEP_1)
	v_mul_lo_u16 v34, v83, 25
	v_sub_nc_u16 v84, v76, v34
	s_delay_alu instid0(VALU_DEP_1) | instskip(NEXT) | instid1(VALU_DEP_1)
	v_lshlrev_b16 v34, 6, v84
	v_and_b32_e32 v34, 0xffff, v34
	s_delay_alu instid0(VALU_DEP_1) | instskip(NEXT) | instid1(VALU_DEP_1)
	v_add_co_u32 v34, s16, s6, v34
	v_add_co_ci_u32_e64 v35, null, s7, 0, s16
	s_clause 0x3
	global_load_b128 v[148:151], v[34:35], off offset:368
	global_load_b128 v[152:155], v[34:35], off offset:352
	;; [unrolled: 1-line block ×4, first 2 shown]
	s_waitcnt vmcnt(0) lgkmcnt(0)
	s_waitcnt_vscnt null, 0x0
	s_barrier
	buffer_gl0_inv
	v_mul_f64 v[34:35], v[26:27], v[162:163]
	s_delay_alu instid0(VALU_DEP_1) | instskip(SKIP_1) | instid1(VALU_DEP_1)
	v_fma_f64 v[54:55], v[24:25], v[160:161], -v[34:35]
	v_mul_f64 v[24:25], v[24:25], v[162:163]
	v_fma_f64 v[34:35], v[26:27], v[160:161], v[24:25]
	v_mul_f64 v[24:25], v[22:23], v[158:159]
	v_add_f64 v[26:27], v[89:90], -v[91:92]
	s_delay_alu instid0(VALU_DEP_2) | instskip(SKIP_2) | instid1(VALU_DEP_2)
	v_fma_f64 v[58:59], v[20:21], v[156:157], -v[24:25]
	v_mul_f64 v[20:21], v[20:21], v[158:159]
	v_add_f64 v[24:25], v[91:92], -v[89:90]
	v_fma_f64 v[38:39], v[22:23], v[156:157], v[20:21]
	v_mul_f64 v[20:21], v[18:19], v[154:155]
	v_add_f64 v[22:23], v[48:49], -v[46:47]
	s_delay_alu instid0(VALU_DEP_2) | instskip(SKIP_2) | instid1(VALU_DEP_2)
	v_fma_f64 v[62:63], v[16:17], v[152:153], -v[20:21]
	v_mul_f64 v[16:17], v[16:17], v[154:155]
	v_add_f64 v[20:21], v[85:86], -v[87:88]
	v_fma_f64 v[68:69], v[18:19], v[152:153], v[16:17]
	v_mul_f64 v[16:17], v[14:15], v[150:151]
	v_add_f64 v[18:19], v[44:45], -v[50:51]
	s_delay_alu instid0(VALU_DEP_4) | instskip(NEXT) | instid1(VALU_DEP_3)
	v_add_f64 v[24:25], v[20:21], v[24:25]
	v_fma_f64 v[66:67], v[12:13], v[148:149], -v[16:17]
	v_mul_f64 v[12:13], v[12:13], v[150:151]
	s_delay_alu instid0(VALU_DEP_1) | instskip(SKIP_2) | instid1(VALU_DEP_2)
	v_fma_f64 v[42:43], v[14:15], v[148:149], v[12:13]
	v_add_f64 v[14:15], v[87:88], v[89:90]
	v_add_f64 v[12:13], v[8:9], v[85:86]
	v_fma_f64 v[14:15], v[14:15], -0.5, v[8:9]
	s_delay_alu instid0(VALU_DEP_2) | instskip(NEXT) | instid1(VALU_DEP_2)
	v_add_f64 v[12:13], v[12:13], v[87:88]
	v_fma_f64 v[16:17], v[18:19], s[2:3], v[14:15]
	v_fma_f64 v[14:15], v[18:19], s[14:15], v[14:15]
	s_delay_alu instid0(VALU_DEP_3) | instskip(NEXT) | instid1(VALU_DEP_3)
	v_add_f64 v[12:13], v[12:13], v[89:90]
	v_fma_f64 v[16:17], v[22:23], s[8:9], v[16:17]
	s_delay_alu instid0(VALU_DEP_3) | instskip(NEXT) | instid1(VALU_DEP_3)
	v_fma_f64 v[14:15], v[22:23], s[10:11], v[14:15]
	v_add_f64 v[12:13], v[12:13], v[91:92]
	s_delay_alu instid0(VALU_DEP_3) | instskip(NEXT) | instid1(VALU_DEP_3)
	v_fma_f64 v[20:21], v[24:25], s[4:5], v[16:17]
	v_fma_f64 v[16:17], v[24:25], s[4:5], v[14:15]
	v_add_f64 v[14:15], v[85:86], v[91:92]
	v_add_f64 v[24:25], v[87:88], -v[85:86]
	s_delay_alu instid0(VALU_DEP_2) | instskip(NEXT) | instid1(VALU_DEP_2)
	v_fma_f64 v[14:15], v[14:15], -0.5, v[8:9]
	v_add_f64 v[24:25], v[24:25], v[26:27]
	v_add_f64 v[26:27], v[85:86], -v[91:92]
	v_add_f64 v[85:86], v[87:88], -v[89:90]
	;; [unrolled: 1-line block ×5, first 2 shown]
	v_fma_f64 v[8:9], v[22:23], s[14:15], v[14:15]
	v_fma_f64 v[14:15], v[22:23], s[2:3], v[14:15]
	s_delay_alu instid0(VALU_DEP_4) | instskip(SKIP_1) | instid1(VALU_DEP_4)
	v_add_f64 v[87:88], v[87:88], v[89:90]
	v_add_f64 v[89:90], v[64:65], -v[60:61]
	v_fma_f64 v[8:9], v[18:19], s[8:9], v[8:9]
	s_delay_alu instid0(VALU_DEP_4) | instskip(SKIP_1) | instid1(VALU_DEP_3)
	v_fma_f64 v[14:15], v[18:19], s[10:11], v[14:15]
	v_add_f64 v[18:19], v[48:49], v[46:47]
	v_fma_f64 v[8:9], v[24:25], s[4:5], v[8:9]
	s_delay_alu instid0(VALU_DEP_3) | instskip(NEXT) | instid1(VALU_DEP_3)
	v_fma_f64 v[24:25], v[24:25], s[4:5], v[14:15]
	v_fma_f64 v[18:19], v[18:19], -0.5, v[10:11]
	v_add_f64 v[14:15], v[10:11], v[44:45]
	s_delay_alu instid0(VALU_DEP_2) | instskip(SKIP_1) | instid1(VALU_DEP_3)
	v_fma_f64 v[22:23], v[26:27], s[14:15], v[18:19]
	v_fma_f64 v[18:19], v[26:27], s[2:3], v[18:19]
	v_add_f64 v[14:15], v[14:15], v[48:49]
	s_delay_alu instid0(VALU_DEP_3) | instskip(NEXT) | instid1(VALU_DEP_3)
	v_fma_f64 v[22:23], v[85:86], s[10:11], v[22:23]
	v_fma_f64 v[18:19], v[85:86], s[8:9], v[18:19]
	s_delay_alu instid0(VALU_DEP_3) | instskip(SKIP_1) | instid1(VALU_DEP_4)
	v_add_f64 v[14:15], v[14:15], v[46:47]
	v_add_f64 v[46:47], v[46:47], -v[50:51]
	v_fma_f64 v[22:23], v[87:88], s[4:5], v[22:23]
	s_delay_alu instid0(VALU_DEP_4) | instskip(SKIP_4) | instid1(VALU_DEP_4)
	v_fma_f64 v[18:19], v[87:88], s[4:5], v[18:19]
	v_add_f64 v[87:88], v[44:45], v[50:51]
	v_add_f64 v[44:45], v[48:49], -v[44:45]
	v_add_f64 v[14:15], v[14:15], v[50:51]
	v_add_f64 v[50:51], v[28:29], -v[36:37]
	v_fma_f64 v[87:88], v[87:88], -0.5, v[10:11]
	s_delay_alu instid0(VALU_DEP_4) | instskip(NEXT) | instid1(VALU_DEP_2)
	v_add_f64 v[44:45], v[44:45], v[46:47]
	v_fma_f64 v[10:11], v[85:86], s[2:3], v[87:88]
	v_fma_f64 v[46:47], v[85:86], s[14:15], v[87:88]
	v_add_f64 v[87:88], v[30:31], -v[32:33]
	v_add_f64 v[85:86], v[52:53], -v[56:57]
	s_delay_alu instid0(VALU_DEP_4) | instskip(NEXT) | instid1(VALU_DEP_4)
	v_fma_f64 v[10:11], v[26:27], s[10:11], v[10:11]
	v_fma_f64 v[26:27], v[26:27], s[8:9], v[46:47]
	v_add_f64 v[46:47], v[56:57], v[60:61]
	s_delay_alu instid0(VALU_DEP_4)
	v_add_f64 v[85:86], v[85:86], v[89:90]
	v_add_f64 v[89:90], v[56:57], -v[52:53]
	v_fma_f64 v[10:11], v[44:45], s[4:5], v[10:11]
	v_fma_f64 v[26:27], v[44:45], s[4:5], v[26:27]
	v_fma_f64 v[46:47], v[46:47], -0.5, v[4:5]
	v_add_f64 v[44:45], v[4:5], v[52:53]
	v_add_f64 v[89:90], v[89:90], v[91:92]
	s_delay_alu instid0(VALU_DEP_3) | instskip(SKIP_1) | instid1(VALU_DEP_4)
	v_fma_f64 v[48:49], v[50:51], s[2:3], v[46:47]
	v_fma_f64 v[46:47], v[50:51], s[14:15], v[46:47]
	v_add_f64 v[44:45], v[44:45], v[56:57]
	v_add_f64 v[56:57], v[56:57], -v[60:61]
	s_delay_alu instid0(VALU_DEP_4) | instskip(NEXT) | instid1(VALU_DEP_4)
	v_fma_f64 v[48:49], v[87:88], s[8:9], v[48:49]
	v_fma_f64 v[46:47], v[87:88], s[10:11], v[46:47]
	s_delay_alu instid0(VALU_DEP_4) | instskip(SKIP_1) | instid1(VALU_DEP_4)
	v_add_f64 v[44:45], v[44:45], v[60:61]
	v_add_f64 v[60:61], v[28:29], -v[30:31]
	v_fma_f64 v[48:49], v[85:86], s[4:5], v[48:49]
	s_delay_alu instid0(VALU_DEP_4) | instskip(SKIP_4) | instid1(VALU_DEP_4)
	v_fma_f64 v[85:86], v[85:86], s[4:5], v[46:47]
	v_add_f64 v[46:47], v[52:53], v[64:65]
	v_add_f64 v[44:45], v[44:45], v[64:65]
	v_add_f64 v[52:53], v[52:53], -v[64:65]
	v_add_f64 v[64:65], v[36:37], -v[32:33]
	v_fma_f64 v[46:47], v[46:47], -0.5, v[4:5]
	s_delay_alu instid0(VALU_DEP_2) | instskip(NEXT) | instid1(VALU_DEP_2)
	v_add_f64 v[60:61], v[60:61], v[64:65]
	v_fma_f64 v[4:5], v[87:88], s[14:15], v[46:47]
	v_fma_f64 v[46:47], v[87:88], s[2:3], v[46:47]
	s_delay_alu instid0(VALU_DEP_2) | instskip(NEXT) | instid1(VALU_DEP_2)
	v_fma_f64 v[4:5], v[50:51], s[8:9], v[4:5]
	v_fma_f64 v[46:47], v[50:51], s[10:11], v[46:47]
	v_add_f64 v[50:51], v[30:31], v[32:33]
	s_delay_alu instid0(VALU_DEP_3) | instskip(NEXT) | instid1(VALU_DEP_3)
	v_fma_f64 v[4:5], v[89:90], s[4:5], v[4:5]
	v_fma_f64 v[89:90], v[89:90], s[4:5], v[46:47]
	s_delay_alu instid0(VALU_DEP_3) | instskip(SKIP_1) | instid1(VALU_DEP_2)
	v_fma_f64 v[87:88], v[50:51], -0.5, v[6:7]
	v_add_f64 v[46:47], v[6:7], v[28:29]
	v_fma_f64 v[50:51], v[52:53], s[14:15], v[87:88]
	v_fma_f64 v[64:65], v[52:53], s[2:3], v[87:88]
	s_delay_alu instid0(VALU_DEP_3) | instskip(NEXT) | instid1(VALU_DEP_3)
	v_add_f64 v[46:47], v[46:47], v[30:31]
	v_fma_f64 v[50:51], v[56:57], s[10:11], v[50:51]
	s_delay_alu instid0(VALU_DEP_3) | instskip(NEXT) | instid1(VALU_DEP_3)
	v_fma_f64 v[64:65], v[56:57], s[8:9], v[64:65]
	v_add_f64 v[46:47], v[46:47], v[32:33]
	s_delay_alu instid0(VALU_DEP_3) | instskip(NEXT) | instid1(VALU_DEP_3)
	v_fma_f64 v[50:51], v[60:61], s[4:5], v[50:51]
	v_fma_f64 v[87:88], v[60:61], s[4:5], v[64:65]
	v_add_f64 v[60:61], v[28:29], v[36:37]
	v_add_f64 v[28:29], v[30:31], -v[28:29]
	v_add_f64 v[30:31], v[32:33], -v[36:37]
	;; [unrolled: 1-line block ×3, first 2 shown]
	v_add_f64 v[46:47], v[46:47], v[36:37]
	v_add_f64 v[64:65], v[62:63], -v[66:67]
	v_fma_f64 v[60:61], v[60:61], -0.5, v[6:7]
	v_add_f64 v[28:29], v[28:29], v[30:31]
	s_delay_alu instid0(VALU_DEP_2) | instskip(SKIP_3) | instid1(VALU_DEP_4)
	v_fma_f64 v[30:31], v[56:57], s[14:15], v[60:61]
	v_fma_f64 v[6:7], v[56:57], s[2:3], v[60:61]
	v_add_f64 v[60:61], v[38:39], -v[68:69]
	v_add_f64 v[56:57], v[66:67], -v[62:63]
	v_fma_f64 v[30:31], v[52:53], s[8:9], v[30:31]
	s_delay_alu instid0(VALU_DEP_4) | instskip(SKIP_1) | instid1(VALU_DEP_3)
	v_fma_f64 v[6:7], v[52:53], s[10:11], v[6:7]
	v_add_f64 v[52:53], v[54:55], -v[58:59]
	v_fma_f64 v[91:92], v[28:29], s[4:5], v[30:31]
	v_add_f64 v[30:31], v[58:59], v[62:63]
	s_delay_alu instid0(VALU_DEP_3) | instskip(SKIP_2) | instid1(VALU_DEP_4)
	v_add_f64 v[56:57], v[52:53], v[56:57]
	v_fma_f64 v[6:7], v[28:29], s[4:5], v[6:7]
	v_add_f64 v[28:29], v[0:1], v[54:55]
	v_fma_f64 v[30:31], v[30:31], -0.5, v[0:1]
	s_delay_alu instid0(VALU_DEP_2) | instskip(NEXT) | instid1(VALU_DEP_2)
	v_add_f64 v[28:29], v[28:29], v[58:59]
	v_fma_f64 v[36:37], v[32:33], s[2:3], v[30:31]
	v_fma_f64 v[30:31], v[32:33], s[14:15], v[30:31]
	s_delay_alu instid0(VALU_DEP_3) | instskip(SKIP_1) | instid1(VALU_DEP_4)
	v_add_f64 v[28:29], v[28:29], v[62:63]
	v_add_f64 v[62:63], v[58:59], -v[62:63]
	v_fma_f64 v[36:37], v[60:61], s[8:9], v[36:37]
	s_delay_alu instid0(VALU_DEP_4) | instskip(NEXT) | instid1(VALU_DEP_4)
	v_fma_f64 v[30:31], v[60:61], s[10:11], v[30:31]
	v_add_f64 v[28:29], v[28:29], v[66:67]
	s_delay_alu instid0(VALU_DEP_3) | instskip(NEXT) | instid1(VALU_DEP_3)
	v_fma_f64 v[52:53], v[56:57], s[4:5], v[36:37]
	v_fma_f64 v[56:57], v[56:57], s[4:5], v[30:31]
	v_add_f64 v[30:31], v[54:55], v[66:67]
	v_add_f64 v[36:37], v[58:59], -v[54:55]
	v_add_f64 v[58:59], v[34:35], -v[38:39]
	s_delay_alu instid0(VALU_DEP_3) | instskip(NEXT) | instid1(VALU_DEP_3)
	v_fma_f64 v[30:31], v[30:31], -0.5, v[0:1]
	v_add_f64 v[36:37], v[36:37], v[64:65]
	v_add_f64 v[64:65], v[42:43], -v[68:69]
	s_delay_alu instid0(VALU_DEP_3) | instskip(SKIP_2) | instid1(VALU_DEP_4)
	v_fma_f64 v[0:1], v[60:61], s[14:15], v[30:31]
	v_fma_f64 v[30:31], v[60:61], s[2:3], v[30:31]
	v_add_f64 v[60:61], v[54:55], -v[66:67]
	v_add_f64 v[58:59], v[58:59], v[64:65]
	s_delay_alu instid0(VALU_DEP_4) | instskip(NEXT) | instid1(VALU_DEP_4)
	v_fma_f64 v[0:1], v[32:33], s[8:9], v[0:1]
	v_fma_f64 v[30:31], v[32:33], s[10:11], v[30:31]
	s_delay_alu instid0(VALU_DEP_2) | instskip(NEXT) | instid1(VALU_DEP_2)
	v_fma_f64 v[0:1], v[36:37], s[4:5], v[0:1]
	v_fma_f64 v[32:33], v[36:37], s[4:5], v[30:31]
	v_add_f64 v[36:37], v[38:39], v[68:69]
	v_add_f64 v[30:31], v[2:3], v[34:35]
	s_delay_alu instid0(VALU_DEP_2) | instskip(NEXT) | instid1(VALU_DEP_2)
	v_fma_f64 v[36:37], v[36:37], -0.5, v[2:3]
	v_add_f64 v[30:31], v[30:31], v[38:39]
	s_delay_alu instid0(VALU_DEP_2) | instskip(SKIP_1) | instid1(VALU_DEP_3)
	v_fma_f64 v[54:55], v[60:61], s[14:15], v[36:37]
	v_fma_f64 v[36:37], v[60:61], s[2:3], v[36:37]
	v_add_f64 v[30:31], v[30:31], v[68:69]
	s_delay_alu instid0(VALU_DEP_3) | instskip(NEXT) | instid1(VALU_DEP_3)
	v_fma_f64 v[54:55], v[62:63], s[10:11], v[54:55]
	v_fma_f64 v[36:37], v[62:63], s[8:9], v[36:37]
	s_delay_alu instid0(VALU_DEP_3) | instskip(NEXT) | instid1(VALU_DEP_3)
	v_add_f64 v[30:31], v[30:31], v[42:43]
	v_fma_f64 v[54:55], v[58:59], s[4:5], v[54:55]
	s_delay_alu instid0(VALU_DEP_3) | instskip(SKIP_3) | instid1(VALU_DEP_3)
	v_fma_f64 v[58:59], v[58:59], s[4:5], v[36:37]
	v_add_f64 v[36:37], v[34:35], v[42:43]
	v_add_f64 v[34:35], v[38:39], -v[34:35]
	v_add_f64 v[38:39], v[68:69], -v[42:43]
	v_fma_f64 v[36:37], v[36:37], -0.5, v[2:3]
	s_delay_alu instid0(VALU_DEP_2) | instskip(SKIP_1) | instid1(VALU_DEP_1)
	v_add_f64 v[34:35], v[34:35], v[38:39]
	v_mul_u32_u24_e32 v39, 0x625, v78
	v_lshrrev_b32_e32 v39, 16, v39
	s_delay_alu instid0(VALU_DEP_4) | instskip(SKIP_1) | instid1(VALU_DEP_2)
	v_fma_f64 v[2:3], v[62:63], s[2:3], v[36:37]
	v_fma_f64 v[36:37], v[62:63], s[14:15], v[36:37]
	;; [unrolled: 1-line block ×3, first 2 shown]
	s_delay_alu instid0(VALU_DEP_2) | instskip(NEXT) | instid1(VALU_DEP_2)
	v_fma_f64 v[36:37], v[60:61], s[8:9], v[36:37]
	v_fma_f64 v[2:3], v[34:35], s[4:5], v[2:3]
	s_delay_alu instid0(VALU_DEP_2) | instskip(SKIP_1) | instid1(VALU_DEP_1)
	v_fma_f64 v[34:35], v[34:35], s[4:5], v[36:37]
	v_and_b32_e32 v36, 0xffff, v41
	v_mul_u32_u24_e32 v36, 0x7d, v36
	s_delay_alu instid0(VALU_DEP_1)
	v_add_lshl_u32 v105, v36, v80, 4
	ds_store_b128 v105, v[12:15]
	ds_store_b128 v105, v[20:23] offset:400
	ds_store_b128 v105, v[8:11] offset:800
	;; [unrolled: 1-line block ×4, first 2 shown]
	v_mad_u16 v8, 0x7d, v81, v82
	v_add_co_u32 v36, s16, 0xffffff83, v71
	s_delay_alu instid0(VALU_DEP_1) | instskip(NEXT) | instid1(VALU_DEP_3)
	v_add_co_ci_u32_e64 v37, null, 0, -1, s16
	v_and_b32_e32 v8, 0xffff, v8
	s_delay_alu instid0(VALU_DEP_3) | instskip(NEXT) | instid1(VALU_DEP_3)
	v_cndmask_b32_e32 v36, v36, v71, vcc_lo
	v_cndmask_b32_e64 v37, v37, 0, vcc_lo
	s_delay_alu instid0(VALU_DEP_3) | instskip(NEXT) | instid1(VALU_DEP_2)
	v_lshlrev_b32_e32 v8, 4, v8
	v_lshlrev_b64 v[37:38], 5, v[36:37]
	scratch_store_b32 off, v8, off offset:472 ; 4-byte Folded Spill
	ds_store_b128 v8, v[44:47]
	ds_store_b128 v8, v[48:51] offset:400
	ds_store_b128 v8, v[4:7] offset:800
	;; [unrolled: 1-line block ×4, first 2 shown]
	v_mad_u16 v4, 0x7d, v83, v84
	v_add_co_u32 v37, vcc_lo, s6, v37
	v_add_co_ci_u32_e32 v38, vcc_lo, s7, v38, vcc_lo
	s_delay_alu instid0(VALU_DEP_3) | instskip(SKIP_1) | instid1(VALU_DEP_2)
	v_and_b32_e32 v4, 0xffff, v4
	v_cmp_lt_u16_e32 vcc_lo, 0x7c, v75
	v_lshlrev_b32_e32 v4, 4, v4
	scratch_store_b32 off, v4, off offset:468 ; 4-byte Folded Spill
	ds_store_b128 v4, v[28:31]
	ds_store_b128 v4, v[52:55] offset:400
	ds_store_b128 v4, v[0:3] offset:800
	;; [unrolled: 1-line block ×4, first 2 shown]
	s_waitcnt lgkmcnt(0)
	s_waitcnt_vscnt null, 0x0
	s_barrier
	buffer_gl0_inv
	ds_load_b128 v[16:19], v40
	ds_load_b128 v[41:44], v40 offset:18000
	ds_load_b128 v[47:50], v40 offset:36000
	;; [unrolled: 1-line block ×14, first 2 shown]
	s_clause 0x1
	global_load_b128 v[132:135], v[37:38], off offset:1936
	global_load_b128 v[140:143], v[37:38], off offset:1920
	s_waitcnt vmcnt(0) lgkmcnt(13)
	v_mul_f64 v[37:38], v[43:44], v[142:143]
	s_delay_alu instid0(VALU_DEP_1) | instskip(SKIP_1) | instid1(VALU_DEP_1)
	v_fma_f64 v[37:38], v[41:42], v[140:141], -v[37:38]
	v_mul_f64 v[41:42], v[41:42], v[142:143]
	v_fma_f64 v[41:42], v[43:44], v[140:141], v[41:42]
	s_waitcnt lgkmcnt(12)
	v_mul_f64 v[43:44], v[49:50], v[134:135]
	s_delay_alu instid0(VALU_DEP_1) | instskip(SKIP_2) | instid1(VALU_DEP_1)
	v_fma_f64 v[45:46], v[47:48], v[132:133], -v[43:44]
	v_mul_f64 v[43:44], v[47:48], v[134:135]
	v_sub_nc_u16 v47, v70, v39
	v_lshrrev_b16 v47, 1, v47
	s_delay_alu instid0(VALU_DEP_1) | instskip(NEXT) | instid1(VALU_DEP_1)
	v_add_nc_u16 v39, v47, v39
	v_lshrrev_b16 v47, 6, v39
	s_delay_alu instid0(VALU_DEP_1) | instskip(NEXT) | instid1(VALU_DEP_1)
	v_mul_lo_u16 v39, 0x7d, v47
	v_sub_nc_u16 v48, v70, v39
	s_delay_alu instid0(VALU_DEP_1) | instskip(NEXT) | instid1(VALU_DEP_1)
	v_lshlrev_b16 v39, 5, v48
	v_and_b32_e32 v39, 0xffff, v39
	v_fma_f64 v[43:44], v[49:50], v[132:133], v[43:44]
	s_delay_alu instid0(VALU_DEP_2) | instskip(NEXT) | instid1(VALU_DEP_1)
	v_add_co_u32 v49, s16, s6, v39
	v_add_co_ci_u32_e64 v50, null, s7, 0, s16
	s_clause 0x1
	global_load_b128 v[164:167], v[49:50], off offset:1936
	global_load_b128 v[168:171], v[49:50], off offset:1920
	v_mul_u32_u24_e32 v39, 0x625, v79
	s_delay_alu instid0(VALU_DEP_1) | instskip(SKIP_2) | instid1(VALU_DEP_1)
	v_lshrrev_b32_e32 v39, 16, v39
	s_waitcnt vmcnt(0) lgkmcnt(10)
	v_mul_f64 v[49:50], v[53:54], v[170:171]
	v_fma_f64 v[67:68], v[51:52], v[168:169], -v[49:50]
	v_mul_f64 v[49:50], v[51:52], v[170:171]
	s_delay_alu instid0(VALU_DEP_1) | instskip(SKIP_2) | instid1(VALU_DEP_1)
	v_fma_f64 v[51:52], v[53:54], v[168:169], v[49:50]
	s_waitcnt lgkmcnt(9)
	v_mul_f64 v[49:50], v[57:58], v[166:167]
	v_fma_f64 v[53:54], v[55:56], v[164:165], -v[49:50]
	v_mul_f64 v[49:50], v[55:56], v[166:167]
	s_delay_alu instid0(VALU_DEP_1) | instskip(SKIP_1) | instid1(VALU_DEP_1)
	v_fma_f64 v[55:56], v[57:58], v[164:165], v[49:50]
	v_sub_nc_u16 v49, v76, v39
	v_lshrrev_b16 v49, 1, v49
	s_delay_alu instid0(VALU_DEP_1) | instskip(NEXT) | instid1(VALU_DEP_1)
	v_add_nc_u16 v39, v49, v39
	v_lshrrev_b16 v49, 6, v39
	s_delay_alu instid0(VALU_DEP_1) | instskip(NEXT) | instid1(VALU_DEP_1)
	v_mul_lo_u16 v39, 0x7d, v49
	v_sub_nc_u16 v50, v76, v39
	s_delay_alu instid0(VALU_DEP_1) | instskip(NEXT) | instid1(VALU_DEP_1)
	v_lshlrev_b16 v39, 5, v50
	v_and_b32_e32 v39, 0xffff, v39
	s_delay_alu instid0(VALU_DEP_1) | instskip(NEXT) | instid1(VALU_DEP_1)
	v_add_co_u32 v57, s16, s6, v39
	v_add_co_ci_u32_e64 v58, null, s7, 0, s16
	s_clause 0x1
	global_load_b128 v[172:175], v[57:58], off offset:1936
	global_load_b128 v[176:179], v[57:58], off offset:1920
	v_and_b32_e32 v39, 0xffff, v72
	s_waitcnt vmcnt(0) lgkmcnt(7)
	v_mul_f64 v[57:58], v[61:62], v[178:179]
	s_delay_alu instid0(VALU_DEP_1) | instskip(SKIP_1) | instid1(VALU_DEP_1)
	v_fma_f64 v[57:58], v[59:60], v[176:177], -v[57:58]
	v_mul_f64 v[59:60], v[59:60], v[178:179]
	v_fma_f64 v[59:60], v[61:62], v[176:177], v[59:60]
	s_waitcnt lgkmcnt(6)
	v_mul_f64 v[61:62], v[65:66], v[174:175]
	s_delay_alu instid0(VALU_DEP_1) | instskip(SKIP_1) | instid1(VALU_DEP_1)
	v_fma_f64 v[61:62], v[63:64], v[172:173], -v[61:62]
	v_mul_f64 v[63:64], v[63:64], v[174:175]
	v_fma_f64 v[63:64], v[65:66], v[172:173], v[63:64]
	v_mul_u32_u24_e32 v65, 0x625, v39
	s_delay_alu instid0(VALU_DEP_1) | instskip(NEXT) | instid1(VALU_DEP_1)
	v_lshrrev_b32_e32 v65, 16, v65
	v_sub_nc_u16 v66, v72, v65
	s_delay_alu instid0(VALU_DEP_1) | instskip(NEXT) | instid1(VALU_DEP_1)
	v_lshrrev_b16 v66, 1, v66
	v_add_nc_u16 v65, v66, v65
	s_delay_alu instid0(VALU_DEP_1) | instskip(NEXT) | instid1(VALU_DEP_1)
	v_lshrrev_b16 v69, 6, v65
	v_mul_lo_u16 v65, 0x7d, v69
	s_delay_alu instid0(VALU_DEP_1) | instskip(NEXT) | instid1(VALU_DEP_1)
	v_sub_nc_u16 v71, v72, v65
	v_lshlrev_b16 v65, 5, v71
	s_delay_alu instid0(VALU_DEP_1) | instskip(NEXT) | instid1(VALU_DEP_1)
	v_and_b32_e32 v65, 0xffff, v65
	v_add_co_u32 v65, s16, s6, v65
	s_delay_alu instid0(VALU_DEP_1)
	v_add_co_ci_u32_e64 v66, null, s7, 0, s16
	s_clause 0x1
	global_load_b128 v[180:183], v[65:66], off offset:1936
	global_load_b128 v[184:187], v[65:66], off offset:1920
	s_waitcnt vmcnt(1) lgkmcnt(3)
	v_mul_f64 v[78:79], v[30:31], v[182:183]
	s_waitcnt vmcnt(0)
	v_mul_f64 v[65:66], v[34:35], v[186:187]
	s_delay_alu instid0(VALU_DEP_2) | instskip(SKIP_1) | instid1(VALU_DEP_3)
	v_fma_f64 v[78:79], v[28:29], v[180:181], -v[78:79]
	v_mul_f64 v[28:29], v[28:29], v[182:183]
	v_fma_f64 v[65:66], v[32:33], v[184:185], -v[65:66]
	v_mul_f64 v[32:33], v[32:33], v[186:187]
	s_delay_alu instid0(VALU_DEP_3) | instskip(SKIP_1) | instid1(VALU_DEP_3)
	v_fma_f64 v[80:81], v[30:31], v[180:181], v[28:29]
	v_and_b32_e32 v28, 0xffff, v188
	v_fma_f64 v[33:34], v[34:35], v[184:185], v[32:33]
	v_add_f64 v[31:32], v[67:68], v[53:54]
	s_delay_alu instid0(VALU_DEP_3) | instskip(NEXT) | instid1(VALU_DEP_1)
	v_mul_u32_u24_e32 v29, 0x625, v28
	v_lshrrev_b32_e32 v29, 16, v29
	s_delay_alu instid0(VALU_DEP_1) | instskip(NEXT) | instid1(VALU_DEP_1)
	v_sub_nc_u16 v30, v188, v29
	v_lshrrev_b16 v30, 1, v30
	s_delay_alu instid0(VALU_DEP_1) | instskip(NEXT) | instid1(VALU_DEP_1)
	v_add_nc_u16 v29, v30, v29
	v_lshrrev_b16 v35, 6, v29
	s_delay_alu instid0(VALU_DEP_1) | instskip(NEXT) | instid1(VALU_DEP_1)
	v_mul_lo_u16 v29, 0x7d, v35
	v_sub_nc_u16 v92, v188, v29
	v_fma_f64 v[31:32], v[31:32], -0.5, v[12:13]
	s_delay_alu instid0(VALU_DEP_2) | instskip(NEXT) | instid1(VALU_DEP_1)
	v_lshlrev_b16 v29, 5, v92
	v_and_b32_e32 v29, 0xffff, v29
	s_delay_alu instid0(VALU_DEP_1) | instskip(NEXT) | instid1(VALU_DEP_1)
	v_add_co_u32 v29, s16, s6, v29
	v_add_co_ci_u32_e64 v30, null, s7, 0, s16
	s_clause 0x1
	global_load_b128 v[188:191], v[29:30], off offset:1936
	global_load_b128 v[196:199], v[29:30], off offset:1920
	s_mov_b32 s16, 0xe8584caa
	s_mov_b32 s17, 0x3febb67a
	;; [unrolled: 1-line block ×3, first 2 shown]
	s_waitcnt vmcnt(0) lgkmcnt(0)
	s_barrier
	buffer_gl0_inv
	v_mul_f64 v[29:30], v[26:27], v[198:199]
	s_delay_alu instid0(VALU_DEP_1) | instskip(SKIP_2) | instid1(VALU_DEP_2)
	v_fma_f64 v[84:85], v[24:25], v[196:197], -v[29:30]
	v_mul_f64 v[24:25], v[24:25], v[198:199]
	v_add_f64 v[29:30], v[37:38], -v[45:46]
	v_fma_f64 v[86:87], v[26:27], v[196:197], v[24:25]
	v_mul_f64 v[24:25], v[22:23], v[190:191]
	v_add_f64 v[26:27], v[41:42], v[43:44]
	s_delay_alu instid0(VALU_DEP_2) | instskip(SKIP_2) | instid1(VALU_DEP_4)
	v_fma_f64 v[88:89], v[20:21], v[188:189], -v[24:25]
	v_mul_f64 v[20:21], v[20:21], v[190:191]
	v_add_f64 v[24:25], v[41:42], -v[43:44]
	v_fma_f64 v[26:27], v[26:27], -0.5, v[18:19]
	s_delay_alu instid0(VALU_DEP_3) | instskip(SKIP_3) | instid1(VALU_DEP_3)
	v_fma_f64 v[90:91], v[22:23], v[188:189], v[20:21]
	v_add_f64 v[22:23], v[37:38], v[45:46]
	v_add_f64 v[20:21], v[16:17], v[37:38]
	v_add_f64 v[37:38], v[51:52], -v[55:56]
	v_fma_f64 v[22:23], v[22:23], -0.5, v[16:17]
	s_delay_alu instid0(VALU_DEP_3) | instskip(SKIP_1) | instid1(VALU_DEP_3)
	v_add_f64 v[20:21], v[20:21], v[45:46]
	v_add_f64 v[45:46], v[59:60], -v[63:64]
	v_fma_f64 v[16:17], v[24:25], s[16:17], v[22:23]
	v_fma_f64 v[24:25], v[24:25], s[18:19], v[22:23]
	v_add_f64 v[22:23], v[18:19], v[41:42]
	v_fma_f64 v[18:19], v[29:30], s[18:19], v[26:27]
	v_fma_f64 v[26:27], v[29:30], s[16:17], v[26:27]
	v_add_f64 v[29:30], v[12:13], v[67:68]
	;; [unrolled: 3-line block ×3, first 2 shown]
	v_add_f64 v[31:32], v[14:15], v[51:52]
	v_add_f64 v[22:23], v[22:23], v[43:44]
	v_add_f64 v[43:44], v[67:68], -v[53:54]
	v_add_f64 v[29:30], v[29:30], v[53:54]
	v_fma_f64 v[37:38], v[37:38], -0.5, v[14:15]
	v_add_f64 v[31:32], v[31:32], v[55:56]
	s_delay_alu instid0(VALU_DEP_2) | instskip(SKIP_2) | instid1(VALU_DEP_1)
	v_fma_f64 v[14:15], v[43:44], s[18:19], v[37:38]
	v_fma_f64 v[43:44], v[43:44], s[16:17], v[37:38]
	v_add_f64 v[37:38], v[8:9], v[57:58]
	v_add_f64 v[51:52], v[37:38], v[61:62]
	;; [unrolled: 1-line block ×3, first 2 shown]
	s_delay_alu instid0(VALU_DEP_1) | instskip(NEXT) | instid1(VALU_DEP_1)
	v_fma_f64 v[37:38], v[37:38], -0.5, v[8:9]
	v_fma_f64 v[8:9], v[45:46], s[16:17], v[37:38]
	v_fma_f64 v[55:56], v[45:46], s[18:19], v[37:38]
	v_add_f64 v[37:38], v[10:11], v[59:60]
	v_add_f64 v[45:46], v[57:58], -v[61:62]
	s_delay_alu instid0(VALU_DEP_2) | instskip(SKIP_1) | instid1(VALU_DEP_1)
	v_add_f64 v[53:54], v[37:38], v[63:64]
	v_add_f64 v[37:38], v[59:60], v[63:64]
	v_fma_f64 v[37:38], v[37:38], -0.5, v[10:11]
	s_delay_alu instid0(VALU_DEP_1) | instskip(SKIP_3) | instid1(VALU_DEP_2)
	v_fma_f64 v[10:11], v[45:46], s[18:19], v[37:38]
	v_fma_f64 v[57:58], v[45:46], s[16:17], v[37:38]
	v_add_f64 v[37:38], v[4:5], v[65:66]
	v_add_f64 v[45:46], v[33:34], -v[80:81]
	v_add_f64 v[59:60], v[37:38], v[78:79]
	v_add_f64 v[37:38], v[65:66], v[78:79]
	s_delay_alu instid0(VALU_DEP_1) | instskip(NEXT) | instid1(VALU_DEP_1)
	v_fma_f64 v[37:38], v[37:38], -0.5, v[4:5]
	v_fma_f64 v[4:5], v[45:46], s[16:17], v[37:38]
	v_fma_f64 v[63:64], v[45:46], s[18:19], v[37:38]
	v_add_f64 v[37:38], v[6:7], v[33:34]
	v_add_f64 v[33:34], v[33:34], v[80:81]
	s_delay_alu instid0(VALU_DEP_2) | instskip(NEXT) | instid1(VALU_DEP_2)
	v_add_f64 v[61:62], v[37:38], v[80:81]
	v_fma_f64 v[33:34], v[33:34], -0.5, v[6:7]
	v_add_f64 v[37:38], v[65:66], -v[78:79]
	s_delay_alu instid0(VALU_DEP_1) | instskip(SKIP_3) | instid1(VALU_DEP_2)
	v_fma_f64 v[6:7], v[37:38], s[18:19], v[33:34]
	v_fma_f64 v[65:66], v[37:38], s[16:17], v[33:34]
	v_add_f64 v[33:34], v[0:1], v[84:85]
	v_add_f64 v[37:38], v[86:87], -v[90:91]
	v_add_f64 v[78:79], v[33:34], v[88:89]
	v_add_f64 v[33:34], v[84:85], v[88:89]
	s_delay_alu instid0(VALU_DEP_1) | instskip(NEXT) | instid1(VALU_DEP_1)
	v_fma_f64 v[33:34], v[33:34], -0.5, v[0:1]
	v_fma_f64 v[0:1], v[37:38], s[16:17], v[33:34]
	v_fma_f64 v[82:83], v[37:38], s[18:19], v[33:34]
	v_add_f64 v[33:34], v[2:3], v[86:87]
	v_add_f64 v[37:38], v[84:85], -v[88:89]
	s_delay_alu instid0(VALU_DEP_2) | instskip(SKIP_1) | instid1(VALU_DEP_1)
	v_add_f64 v[80:81], v[33:34], v[90:91]
	v_add_f64 v[33:34], v[86:87], v[90:91]
	v_fma_f64 v[33:34], v[33:34], -0.5, v[2:3]
	s_delay_alu instid0(VALU_DEP_1) | instskip(SKIP_2) | instid1(VALU_DEP_1)
	v_fma_f64 v[2:3], v[37:38], s[18:19], v[33:34]
	v_fma_f64 v[84:85], v[37:38], s[16:17], v[33:34]
	v_cndmask_b32_e64 v33, 0, 0x177, vcc_lo
	v_add_lshl_u32 v33, v36, v33, 4
	scratch_store_b32 off, v33, off offset:492 ; 4-byte Folded Spill
	ds_store_b128 v33, v[20:23]
	ds_store_b128 v33, v[16:19] offset:2000
	ds_store_b128 v33, v[24:27] offset:4000
	v_mad_u16 v16, 0x177, v47, v48
	v_lshlrev_b32_e32 v20, 5, v93
	s_delay_alu instid0(VALU_DEP_2) | instskip(NEXT) | instid1(VALU_DEP_2)
	v_and_b32_e32 v16, 0xffff, v16
	v_add_co_u32 v22, s20, s6, v20
	s_delay_alu instid0(VALU_DEP_1) | instskip(NEXT) | instid1(VALU_DEP_3)
	v_add_co_ci_u32_e64 v23, null, s7, 0, s20
	v_lshlrev_b32_e32 v16, 4, v16
	s_delay_alu instid0(VALU_DEP_3) | instskip(NEXT) | instid1(VALU_DEP_3)
	v_add_co_u32 v20, vcc_lo, 0x1720, v22
	v_add_co_ci_u32_e32 v21, vcc_lo, 0, v23, vcc_lo
	scratch_store_b32 off, v16, off offset:488 ; 4-byte Folded Spill
	ds_store_b128 v16, v[29:32]
	ds_store_b128 v16, v[12:15] offset:2000
	ds_store_b128 v16, v[41:44] offset:4000
	v_mad_u16 v12, 0x177, v49, v50
	v_add_co_u32 v37, vcc_lo, 0x1000, v22
	v_add_co_ci_u32_e32 v38, vcc_lo, 0, v23, vcc_lo
	s_delay_alu instid0(VALU_DEP_3) | instskip(SKIP_1) | instid1(VALU_DEP_2)
	v_and_b32_e32 v12, 0xffff, v12
	v_cmp_gt_u16_e32 vcc_lo, 0x96, v75
	v_lshlrev_b32_e32 v12, 4, v12
	scratch_store_b32 off, v12, off offset:484 ; 4-byte Folded Spill
	ds_store_b128 v12, v[51:54]
	ds_store_b128 v12, v[8:11] offset:2000
	ds_store_b128 v12, v[55:58] offset:4000
	v_mad_u16 v8, 0x177, v69, v71
	s_delay_alu instid0(VALU_DEP_1) | instskip(NEXT) | instid1(VALU_DEP_1)
	v_and_b32_e32 v8, 0xffff, v8
	v_lshlrev_b32_e32 v8, 4, v8
	scratch_store_b32 off, v8, off offset:480 ; 4-byte Folded Spill
	ds_store_b128 v8, v[59:62]
	ds_store_b128 v8, v[4:7] offset:2000
	ds_store_b128 v8, v[63:66] offset:4000
	v_mad_u16 v4, 0x177, v35, v92
	s_delay_alu instid0(VALU_DEP_1) | instskip(NEXT) | instid1(VALU_DEP_1)
	v_and_b32_e32 v4, 0xffff, v4
	v_lshlrev_b32_e32 v4, 4, v4
	scratch_store_b32 off, v4, off offset:476 ; 4-byte Folded Spill
	ds_store_b128 v4, v[78:81]
	ds_store_b128 v4, v[0:3] offset:2000
	ds_store_b128 v4, v[82:85] offset:4000
	s_waitcnt lgkmcnt(0)
	s_waitcnt_vscnt null, 0x0
	s_barrier
	buffer_gl0_inv
	ds_load_b128 v[16:19], v40
	ds_load_b128 v[24:27], v40 offset:18000
	ds_load_b128 v[29:32], v40 offset:36000
	;; [unrolled: 1-line block ×14, first 2 shown]
	scratch_store_b32 off, v93, off offset:324 ; 4-byte Folded Spill
	s_clause 0x1
	global_load_b128 v[200:203], v[37:38], off offset:1824
	global_load_b128 v[192:195], v[20:21], off offset:16
	s_waitcnt vmcnt(1) lgkmcnt(13)
	v_mul_f64 v[20:21], v[26:27], v[202:203]
	s_delay_alu instid0(VALU_DEP_1) | instskip(SKIP_1) | instid1(VALU_DEP_1)
	v_fma_f64 v[37:38], v[24:25], v[200:201], -v[20:21]
	v_mul_f64 v[20:21], v[24:25], v[202:203]
	v_fma_f64 v[78:79], v[26:27], v[200:201], v[20:21]
	s_waitcnt vmcnt(0) lgkmcnt(12)
	v_mul_f64 v[20:21], v[31:32], v[194:195]
	s_delay_alu instid0(VALU_DEP_1) | instskip(SKIP_1) | instid1(VALU_DEP_1)
	v_fma_f64 v[80:81], v[29:30], v[192:193], -v[20:21]
	v_mul_f64 v[20:21], v[29:30], v[194:195]
	v_fma_f64 v[30:31], v[31:32], v[192:193], v[20:21]
	v_add_co_u32 v20, s20, 0xffffff6a, v93
	s_delay_alu instid0(VALU_DEP_1) | instskip(NEXT) | instid1(VALU_DEP_1)
	v_add_co_ci_u32_e64 v21, null, 0, -1, s20
	v_dual_cndmask_b32 v20, v20, v70 :: v_dual_cndmask_b32 v21, v21, v77
	s_delay_alu instid0(VALU_DEP_1) | instskip(NEXT) | instid1(VALU_DEP_1)
	v_lshlrev_b64 v[24:25], 5, v[20:21]
	v_add_co_u32 v21, vcc_lo, s6, v24
	s_delay_alu instid0(VALU_DEP_2) | instskip(NEXT) | instid1(VALU_DEP_2)
	v_add_co_ci_u32_e32 v27, vcc_lo, s7, v25, vcc_lo
	v_add_co_u32 v24, vcc_lo, 0x1720, v21
	s_delay_alu instid0(VALU_DEP_2)
	v_add_co_ci_u32_e32 v25, vcc_lo, 0, v27, vcc_lo
	v_add_co_u32 v26, vcc_lo, 0x1000, v21
	v_add_co_ci_u32_e32 v27, vcc_lo, 0, v27, vcc_lo
	s_clause 0x1
	global_load_b128 v[208:211], v[26:27], off offset:1824
	global_load_b128 v[204:207], v[24:25], off offset:16
	v_mul_u32_u24_e32 v21, 0x5d87, v39
	s_delay_alu instid0(VALU_DEP_1) | instskip(SKIP_2) | instid1(VALU_DEP_1)
	v_lshrrev_b32_e32 v21, 16, v21
	s_waitcnt vmcnt(1) lgkmcnt(10)
	v_mul_f64 v[24:25], v[35:36], v[210:211]
	v_fma_f64 v[82:83], v[33:34], v[208:209], -v[24:25]
	v_mul_f64 v[24:25], v[33:34], v[210:211]
	v_add_f64 v[32:33], v[37:38], -v[80:81]
	s_delay_alu instid0(VALU_DEP_2) | instskip(SKIP_2) | instid1(VALU_DEP_1)
	v_fma_f64 v[84:85], v[35:36], v[208:209], v[24:25]
	s_waitcnt vmcnt(0) lgkmcnt(9)
	v_mul_f64 v[24:25], v[43:44], v[206:207]
	v_fma_f64 v[86:87], v[41:42], v[204:205], -v[24:25]
	v_mul_f64 v[24:25], v[41:42], v[206:207]
	s_delay_alu instid0(VALU_DEP_2) | instskip(NEXT) | instid1(VALU_DEP_2)
	v_add_f64 v[34:35], v[82:83], v[86:87]
	v_fma_f64 v[41:42], v[43:44], v[204:205], v[24:25]
	v_add_co_u32 v24, vcc_lo, 0x2080, v22
	v_add_co_ci_u32_e32 v25, vcc_lo, 0, v23, vcc_lo
	v_add_co_u32 v26, vcc_lo, 0x2000, v22
	v_add_co_ci_u32_e32 v27, vcc_lo, 0, v23, vcc_lo
	s_clause 0x1
	global_load_b128 v[216:219], v[26:27], off offset:128
	global_load_b128 v[212:215], v[24:25], off offset:16
	v_fma_f64 v[34:35], v[34:35], -0.5, v[12:13]
	s_waitcnt vmcnt(1) lgkmcnt(7)
	v_mul_f64 v[24:25], v[47:48], v[218:219]
	s_delay_alu instid0(VALU_DEP_1) | instskip(SKIP_1) | instid1(VALU_DEP_1)
	v_fma_f64 v[88:89], v[45:46], v[216:217], -v[24:25]
	v_mul_f64 v[24:25], v[45:46], v[218:219]
	v_fma_f64 v[47:48], v[47:48], v[216:217], v[24:25]
	s_waitcnt vmcnt(0) lgkmcnt(6)
	v_mul_f64 v[24:25], v[51:52], v[214:215]
	s_delay_alu instid0(VALU_DEP_1) | instskip(SKIP_1) | instid1(VALU_DEP_2)
	v_fma_f64 v[90:91], v[49:50], v[212:213], -v[24:25]
	v_mul_f64 v[24:25], v[49:50], v[214:215]
	v_add_f64 v[43:44], v[88:89], v[90:91]
	s_delay_alu instid0(VALU_DEP_2) | instskip(SKIP_1) | instid1(VALU_DEP_1)
	v_fma_f64 v[49:50], v[51:52], v[212:213], v[24:25]
	v_sub_nc_u16 v24, v72, v21
	v_lshrrev_b16 v24, 1, v24
	s_delay_alu instid0(VALU_DEP_1) | instskip(NEXT) | instid1(VALU_DEP_1)
	v_add_nc_u16 v21, v24, v21
	v_lshrrev_b16 v21, 8, v21
	s_delay_alu instid0(VALU_DEP_1) | instskip(NEXT) | instid1(VALU_DEP_1)
	v_mul_lo_u16 v24, 0x177, v21
	v_sub_nc_u16 v69, v72, v24
	s_delay_alu instid0(VALU_DEP_1) | instskip(NEXT) | instid1(VALU_DEP_1)
	v_lshlrev_b16 v24, 5, v69
	v_and_b32_e32 v24, 0xffff, v24
	v_fma_f64 v[43:44], v[43:44], -0.5, v[8:9]
	v_add_f64 v[45:46], v[47:48], -v[49:50]
	s_delay_alu instid0(VALU_DEP_3) | instskip(NEXT) | instid1(VALU_DEP_1)
	v_add_co_u32 v26, s20, s6, v24
	v_add_co_ci_u32_e64 v27, null, s7, 0, s20
	s_delay_alu instid0(VALU_DEP_2) | instskip(NEXT) | instid1(VALU_DEP_2)
	v_add_co_u32 v24, vcc_lo, 0x1720, v26
	v_add_co_ci_u32_e32 v25, vcc_lo, 0, v27, vcc_lo
	v_add_co_u32 v26, vcc_lo, 0x1000, v26
	v_add_co_ci_u32_e32 v27, vcc_lo, 0, v27, vcc_lo
	s_clause 0x1
	global_load_b128 v[228:231], v[26:27], off offset:1824
	global_load_b128 v[220:223], v[24:25], off offset:16
	s_waitcnt vmcnt(1) lgkmcnt(4)
	v_mul_f64 v[24:25], v[55:56], v[230:231]
	s_delay_alu instid0(VALU_DEP_1) | instskip(SKIP_1) | instid1(VALU_DEP_1)
	v_fma_f64 v[92:93], v[53:54], v[228:229], -v[24:25]
	v_mul_f64 v[24:25], v[53:54], v[230:231]
	v_fma_f64 v[55:56], v[55:56], v[228:229], v[24:25]
	s_waitcnt vmcnt(0) lgkmcnt(3)
	v_mul_f64 v[24:25], v[59:60], v[222:223]
	s_delay_alu instid0(VALU_DEP_1) | instskip(SKIP_1) | instid1(VALU_DEP_2)
	v_fma_f64 v[94:95], v[57:58], v[220:221], -v[24:25]
	v_mul_f64 v[24:25], v[57:58], v[222:223]
	v_add_f64 v[51:52], v[92:93], v[94:95]
	s_delay_alu instid0(VALU_DEP_2) | instskip(SKIP_2) | instid1(VALU_DEP_2)
	v_fma_f64 v[57:58], v[59:60], v[220:221], v[24:25]
	v_mul_u32_u24_e32 v24, 0x5d87, v28
	v_add_f64 v[28:29], v[78:79], -v[30:31]
	v_lshrrev_b32_e32 v24, 16, v24
	s_delay_alu instid0(VALU_DEP_1) | instskip(NEXT) | instid1(VALU_DEP_1)
	v_sub_nc_u16 v25, v106, v24
	v_lshrrev_b16 v25, 1, v25
	s_delay_alu instid0(VALU_DEP_1) | instskip(NEXT) | instid1(VALU_DEP_1)
	v_add_nc_u16 v24, v25, v24
	v_lshrrev_b16 v24, 8, v24
	s_delay_alu instid0(VALU_DEP_1) | instskip(NEXT) | instid1(VALU_DEP_1)
	v_mul_lo_u16 v24, 0x177, v24
	v_sub_nc_u16 v71, v106, v24
	v_fma_f64 v[51:52], v[51:52], -0.5, v[4:5]
	v_add_f64 v[53:54], v[55:56], -v[57:58]
	s_delay_alu instid0(VALU_DEP_3) | instskip(NEXT) | instid1(VALU_DEP_1)
	v_lshlrev_b16 v24, 5, v71
	v_and_b32_e32 v24, 0xffff, v24
	s_delay_alu instid0(VALU_DEP_1) | instskip(NEXT) | instid1(VALU_DEP_1)
	v_add_co_u32 v26, s20, s6, v24
	v_add_co_ci_u32_e64 v27, null, s7, 0, s20
	s_delay_alu instid0(VALU_DEP_2) | instskip(NEXT) | instid1(VALU_DEP_2)
	v_add_co_u32 v24, vcc_lo, 0x1720, v26
	v_add_co_ci_u32_e32 v25, vcc_lo, 0, v27, vcc_lo
	v_add_co_u32 v26, vcc_lo, 0x1000, v26
	v_add_co_ci_u32_e32 v27, vcc_lo, 0, v27, vcc_lo
	s_clause 0x1
	global_load_b128 v[248:251], v[26:27], off offset:1824
	global_load_b128 v[236:239], v[24:25], off offset:16
	v_add_f64 v[26:27], v[37:38], v[80:81]
	v_cmp_lt_u16_e32 vcc_lo, 0x95, v75
	s_waitcnt vmcnt(0) lgkmcnt(0)
	s_waitcnt_vscnt null, 0x0
	s_barrier
	buffer_gl0_inv
	v_fma_f64 v[26:27], v[26:27], -0.5, v[16:17]
	v_mul_f64 v[24:25], v[63:64], v[250:251]
	s_delay_alu instid0(VALU_DEP_1) | instskip(SKIP_1) | instid1(VALU_DEP_1)
	v_fma_f64 v[96:97], v[61:62], v[248:249], -v[24:25]
	v_mul_f64 v[24:25], v[61:62], v[250:251]
	v_fma_f64 v[63:64], v[63:64], v[248:249], v[24:25]
	v_mul_f64 v[24:25], v[67:68], v[238:239]
	s_delay_alu instid0(VALU_DEP_1) | instskip(SKIP_1) | instid1(VALU_DEP_2)
	v_fma_f64 v[98:99], v[65:66], v[236:237], -v[24:25]
	v_mul_f64 v[24:25], v[65:66], v[238:239]
	v_add_f64 v[59:60], v[96:97], v[98:99]
	s_delay_alu instid0(VALU_DEP_2)
	v_fma_f64 v[65:66], v[67:68], v[236:237], v[24:25]
	v_add_f64 v[24:25], v[16:17], v[37:38]
	v_fma_f64 v[16:17], v[28:29], s[16:17], v[26:27]
	v_fma_f64 v[28:29], v[28:29], s[18:19], v[26:27]
	v_add_f64 v[26:27], v[18:19], v[78:79]
	v_add_f64 v[36:37], v[84:85], -v[41:42]
	v_add_f64 v[38:39], v[84:85], v[41:42]
	v_fma_f64 v[59:60], v[59:60], -0.5, v[0:1]
	v_add_f64 v[61:62], v[63:64], -v[65:66]
	v_add_f64 v[24:25], v[24:25], v[80:81]
	v_add_f64 v[26:27], v[26:27], v[30:31]
	;; [unrolled: 1-line block ×3, first 2 shown]
	v_fma_f64 v[38:39], v[38:39], -0.5, v[14:15]
	s_delay_alu instid0(VALU_DEP_2) | instskip(NEXT) | instid1(VALU_DEP_1)
	v_fma_f64 v[30:31], v[30:31], -0.5, v[18:19]
	v_fma_f64 v[18:19], v[32:33], s[18:19], v[30:31]
	v_fma_f64 v[30:31], v[32:33], s[16:17], v[30:31]
	v_add_f64 v[32:33], v[12:13], v[82:83]
	v_fma_f64 v[12:13], v[36:37], s[16:17], v[34:35]
	v_fma_f64 v[36:37], v[36:37], s[18:19], v[34:35]
	v_add_f64 v[34:35], v[14:15], v[84:85]
	ds_store_b128 v40, v[24:27]
	ds_store_b128 v40, v[16:19] offset:6000
	ds_store_b128 v40, v[28:31] offset:12000
	v_cndmask_b32_e64 v16, 0, 0x465, vcc_lo
	v_add_f64 v[32:33], v[32:33], v[86:87]
	v_add_f64 v[34:35], v[34:35], v[41:42]
	v_add_f64 v[41:42], v[82:83], -v[86:87]
	s_delay_alu instid0(VALU_DEP_4)
	v_add_lshl_u32 v16, v20, v16, 4
	v_add_co_u32 v20, vcc_lo, 0x4600, v22
	scratch_store_b32 off, v16, off offset:504 ; 4-byte Folded Spill
	v_fma_f64 v[14:15], v[41:42], s[18:19], v[38:39]
	v_fma_f64 v[38:39], v[41:42], s[16:17], v[38:39]
	v_add_f64 v[41:42], v[8:9], v[88:89]
	v_fma_f64 v[8:9], v[45:46], s[16:17], v[43:44]
	v_fma_f64 v[45:46], v[45:46], s[18:19], v[43:44]
	v_add_f64 v[43:44], v[10:11], v[47:48]
	v_add_f64 v[47:48], v[47:48], v[49:50]
	;; [unrolled: 1-line block ×3, first 2 shown]
	s_delay_alu instid0(VALU_DEP_3) | instskip(NEXT) | instid1(VALU_DEP_3)
	v_add_f64 v[43:44], v[43:44], v[49:50]
	v_fma_f64 v[47:48], v[47:48], -0.5, v[10:11]
	v_add_f64 v[49:50], v[88:89], -v[90:91]
	s_delay_alu instid0(VALU_DEP_1)
	v_fma_f64 v[10:11], v[49:50], s[18:19], v[47:48]
	v_fma_f64 v[47:48], v[49:50], s[16:17], v[47:48]
	v_add_f64 v[49:50], v[4:5], v[92:93]
	v_fma_f64 v[4:5], v[53:54], s[16:17], v[51:52]
	v_fma_f64 v[53:54], v[53:54], s[18:19], v[51:52]
	v_add_f64 v[51:52], v[6:7], v[55:56]
	v_add_f64 v[55:56], v[55:56], v[57:58]
	ds_store_b128 v16, v[32:35]
	ds_store_b128 v16, v[12:15] offset:6000
	ds_store_b128 v16, v[36:39] offset:12000
	;; [unrolled: 1-line block ×5, first 2 shown]
	v_mad_u16 v8, 0x465, v21, v69
	v_add_co_ci_u32_e32 v21, vcc_lo, 0, v23, vcc_lo
	v_add_co_u32 v22, vcc_lo, 0x4000, v22
	v_add_f64 v[49:50], v[49:50], v[94:95]
	s_delay_alu instid0(VALU_DEP_4)
	v_and_b32_e32 v8, 0xffff, v8
	v_add_co_ci_u32_e32 v23, vcc_lo, 0, v23, vcc_lo
	v_add_f64 v[51:52], v[51:52], v[57:58]
	v_fma_f64 v[55:56], v[55:56], -0.5, v[6:7]
	v_add_f64 v[57:58], v[92:93], -v[94:95]
	v_lshlrev_b32_e32 v8, 4, v8
	scratch_store_b32 off, v8, off offset:500 ; 4-byte Folded Spill
	v_fma_f64 v[6:7], v[57:58], s[18:19], v[55:56]
	v_fma_f64 v[55:56], v[57:58], s[16:17], v[55:56]
	v_add_f64 v[57:58], v[0:1], v[96:97]
	v_fma_f64 v[0:1], v[61:62], s[16:17], v[59:60]
	v_fma_f64 v[61:62], v[61:62], s[18:19], v[59:60]
	v_add_f64 v[59:60], v[2:3], v[63:64]
	v_add_f64 v[63:64], v[63:64], v[65:66]
	ds_store_b128 v8, v[49:52]
	ds_store_b128 v8, v[4:7] offset:6000
	ds_store_b128 v8, v[53:56] offset:12000
	v_and_b32_e32 v4, 0xffff, v71
	v_add_f64 v[57:58], v[57:58], v[98:99]
	v_add_f64 v[59:60], v[59:60], v[65:66]
	v_fma_f64 v[63:64], v[63:64], -0.5, v[2:3]
	v_add_f64 v[65:66], v[96:97], -v[98:99]
	v_lshlrev_b32_e32 v4, 4, v4
	scratch_store_b32 off, v4, off offset:496 ; 4-byte Folded Spill
	v_fma_f64 v[2:3], v[65:66], s[18:19], v[63:64]
	v_fma_f64 v[63:64], v[65:66], s[16:17], v[63:64]
	ds_store_b128 v4, v[57:60] offset:36000
	ds_store_b128 v4, v[0:3] offset:42000
	;; [unrolled: 1-line block ×3, first 2 shown]
	s_waitcnt lgkmcnt(0)
	s_waitcnt_vscnt null, 0x0
	s_barrier
	buffer_gl0_inv
	ds_load_b128 v[16:19], v40
	ds_load_b128 v[24:27], v40 offset:18000
	ds_load_b128 v[28:31], v40 offset:36000
	;; [unrolled: 1-line block ×14, first 2 shown]
	s_clause 0x1
	global_load_b128 v[232:235], v[22:23], off offset:1536
	global_load_b128 v[224:227], v[20:21], off offset:16
	s_waitcnt vmcnt(1) lgkmcnt(13)
	v_mul_f64 v[20:21], v[26:27], v[234:235]
	s_delay_alu instid0(VALU_DEP_1) | instskip(SKIP_2) | instid1(VALU_DEP_2)
	v_fma_f64 v[65:66], v[24:25], v[232:233], -v[20:21]
	v_mul_f64 v[20:21], v[24:25], v[234:235]
	v_lshlrev_b32_e32 v24, 5, v72
	v_fma_f64 v[26:27], v[26:27], v[232:233], v[20:21]
	s_waitcnt vmcnt(0) lgkmcnt(12)
	v_mul_f64 v[20:21], v[30:31], v[226:227]
	s_delay_alu instid0(VALU_DEP_1) | instskip(SKIP_1) | instid1(VALU_DEP_1)
	v_fma_f64 v[67:68], v[28:29], v[224:225], -v[20:21]
	v_mul_f64 v[20:21], v[28:29], v[226:227]
	v_fma_f64 v[28:29], v[30:31], v[224:225], v[20:21]
	v_lshlrev_b32_e32 v20, 5, v70
	s_delay_alu instid0(VALU_DEP_1) | instskip(NEXT) | instid1(VALU_DEP_1)
	v_add_co_u32 v22, s20, s6, v20
	v_add_co_ci_u32_e64 v23, null, s7, 0, s20
	s_delay_alu instid0(VALU_DEP_2) | instskip(NEXT) | instid1(VALU_DEP_2)
	v_add_co_u32 v20, vcc_lo, 0x4600, v22
	v_add_co_ci_u32_e32 v21, vcc_lo, 0, v23, vcc_lo
	v_add_co_u32 v22, vcc_lo, 0x4000, v22
	v_add_co_ci_u32_e32 v23, vcc_lo, 0, v23, vcc_lo
	s_clause 0x1
	global_load_b128 v[244:247], v[22:23], off offset:1536
	global_load_b128 v[240:243], v[20:21], off offset:16
	s_waitcnt vmcnt(1) lgkmcnt(10)
	v_mul_f64 v[20:21], v[34:35], v[246:247]
	s_delay_alu instid0(VALU_DEP_1) | instskip(SKIP_1) | instid1(VALU_DEP_1)
	v_fma_f64 v[77:78], v[32:33], v[244:245], -v[20:21]
	v_mul_f64 v[20:21], v[32:33], v[246:247]
	v_fma_f64 v[34:35], v[34:35], v[244:245], v[20:21]
	s_waitcnt vmcnt(0) lgkmcnt(9)
	v_mul_f64 v[20:21], v[38:39], v[242:243]
	s_delay_alu instid0(VALU_DEP_1) | instskip(SKIP_1) | instid1(VALU_DEP_1)
	v_fma_f64 v[79:80], v[36:37], v[240:241], -v[20:21]
	v_mul_f64 v[20:21], v[36:37], v[242:243]
	v_fma_f64 v[36:37], v[38:39], v[240:241], v[20:21]
	v_lshlrev_b32_e32 v20, 5, v76
	s_delay_alu instid0(VALU_DEP_1) | instskip(NEXT) | instid1(VALU_DEP_1)
	v_add_co_u32 v22, s20, s6, v20
	v_add_co_ci_u32_e64 v23, null, s7, 0, s20
	v_add_co_u32 v30, s20, s6, v24
	s_delay_alu instid0(VALU_DEP_3) | instskip(NEXT) | instid1(VALU_DEP_3)
	v_add_co_u32 v20, vcc_lo, 0x4600, v22
	v_add_co_ci_u32_e32 v21, vcc_lo, 0, v23, vcc_lo
	v_add_co_u32 v22, vcc_lo, 0x4000, v22
	v_add_co_ci_u32_e64 v31, null, s7, 0, s20
	v_add_co_ci_u32_e32 v23, vcc_lo, 0, v23, vcc_lo
	v_add_co_u32 v24, vcc_lo, 0x4600, v30
	s_delay_alu instid0(VALU_DEP_3)
	v_add_co_ci_u32_e32 v25, vcc_lo, 0, v31, vcc_lo
	v_add_co_u32 v30, vcc_lo, 0x4000, v30
	v_add_co_ci_u32_e32 v31, vcc_lo, 0, v31, vcc_lo
	s_clause 0x3
	global_load_b128 v[101:104], v[22:23], off offset:1536
	global_load_b128 v[252:255], v[20:21], off offset:16
	;; [unrolled: 1-line block ×4, first 2 shown]
	v_add_f64 v[32:33], v[34:35], -v[36:37]
	s_waitcnt vmcnt(3) lgkmcnt(7)
	v_mul_f64 v[20:21], v[43:44], v[103:104]
	s_waitcnt vmcnt(2) lgkmcnt(6)
	v_mul_f64 v[22:23], v[45:46], v[254:255]
	;; [unrolled: 2-line block ×3, first 2 shown]
	s_delay_alu instid0(VALU_DEP_3) | instskip(SKIP_1) | instid1(VALU_DEP_4)
	v_fma_f64 v[75:76], v[41:42], v[101:102], -v[20:21]
	v_mul_f64 v[20:21], v[41:42], v[103:104]
	v_fma_f64 v[22:23], v[47:48], v[252:253], v[22:23]
	s_delay_alu instid0(VALU_DEP_4) | instskip(SKIP_1) | instid1(VALU_DEP_4)
	v_fma_f64 v[81:82], v[49:50], v[93:94], -v[24:25]
	v_mul_f64 v[24:25], v[49:50], v[95:96]
	v_fma_f64 v[43:44], v[43:44], v[101:102], v[20:21]
	v_mul_f64 v[20:21], v[47:48], v[254:255]
	s_delay_alu instid0(VALU_DEP_3) | instskip(SKIP_2) | instid1(VALU_DEP_4)
	v_fma_f64 v[51:52], v[51:52], v[93:94], v[24:25]
	s_waitcnt vmcnt(0) lgkmcnt(3)
	v_mul_f64 v[24:25], v[55:56], v[99:100]
	v_add_f64 v[41:42], v[43:44], -v[22:23]
	s_delay_alu instid0(VALU_DEP_4) | instskip(NEXT) | instid1(VALU_DEP_3)
	v_fma_f64 v[20:21], v[45:46], v[252:253], -v[20:21]
	v_fma_f64 v[69:70], v[53:54], v[97:98], -v[24:25]
	v_mul_f64 v[24:25], v[53:54], v[99:100]
	s_delay_alu instid0(VALU_DEP_3) | instskip(NEXT) | instid1(VALU_DEP_2)
	v_add_f64 v[38:39], v[75:76], v[20:21]
	v_fma_f64 v[53:54], v[55:56], v[97:98], v[24:25]
	v_lshlrev_b32_e32 v24, 5, v106
	s_delay_alu instid0(VALU_DEP_1) | instskip(NEXT) | instid1(VALU_DEP_1)
	v_add_co_u32 v30, s6, s6, v24
	v_add_co_ci_u32_e64 v31, null, s7, 0, s6
	s_delay_alu instid0(VALU_DEP_2) | instskip(NEXT) | instid1(VALU_DEP_2)
	v_add_co_u32 v24, vcc_lo, 0x4600, v30
	v_add_co_ci_u32_e32 v25, vcc_lo, 0, v31, vcc_lo
	v_add_co_u32 v30, vcc_lo, 0x4000, v30
	v_add_co_ci_u32_e32 v31, vcc_lo, 0, v31, vcc_lo
	s_clause 0x1
	global_load_b128 v[85:88], v[30:31], off offset:1536
	global_load_b128 v[89:92], v[24:25], off offset:16
	v_add_f64 v[30:31], v[26:27], -v[28:29]
	v_fma_f64 v[38:39], v[38:39], -0.5, v[8:9]
	s_waitcnt vmcnt(1) lgkmcnt(1)
	v_mul_f64 v[24:25], v[59:60], v[87:88]
	s_delay_alu instid0(VALU_DEP_1) | instskip(SKIP_1) | instid1(VALU_DEP_1)
	v_fma_f64 v[83:84], v[57:58], v[85:86], -v[24:25]
	v_mul_f64 v[24:25], v[57:58], v[87:88]
	v_fma_f64 v[59:60], v[59:60], v[85:86], v[24:25]
	s_waitcnt vmcnt(0) lgkmcnt(0)
	v_mul_f64 v[24:25], v[63:64], v[91:92]
	s_delay_alu instid0(VALU_DEP_1) | instskip(SKIP_1) | instid1(VALU_DEP_1)
	v_fma_f64 v[71:72], v[61:62], v[89:90], -v[24:25]
	v_mul_f64 v[24:25], v[61:62], v[91:92]
	v_fma_f64 v[106:107], v[63:64], v[89:90], v[24:25]
	v_add_f64 v[24:25], v[16:17], v[65:66]
	s_delay_alu instid0(VALU_DEP_1) | instskip(SKIP_1) | instid1(VALU_DEP_1)
	v_add_f64 v[61:62], v[24:25], v[67:68]
	v_add_f64 v[24:25], v[65:66], v[67:68]
	v_fma_f64 v[24:25], v[24:25], -0.5, v[16:17]
	s_delay_alu instid0(VALU_DEP_1) | instskip(SKIP_3) | instid1(VALU_DEP_2)
	v_fma_f64 v[16:17], v[30:31], s[16:17], v[24:25]
	v_fma_f64 v[24:25], v[30:31], s[18:19], v[24:25]
	v_add_f64 v[30:31], v[18:19], v[26:27]
	v_add_f64 v[26:27], v[26:27], v[28:29]
	;; [unrolled: 1-line block ×4, first 2 shown]
	s_delay_alu instid0(VALU_DEP_3) | instskip(SKIP_1) | instid1(VALU_DEP_3)
	v_fma_f64 v[26:27], v[26:27], -0.5, v[18:19]
	v_add_f64 v[28:29], v[65:66], -v[67:68]
	v_fma_f64 v[30:31], v[30:31], -0.5, v[12:13]
	s_delay_alu instid0(VALU_DEP_2) | instskip(SKIP_2) | instid1(VALU_DEP_4)
	v_fma_f64 v[18:19], v[28:29], s[18:19], v[26:27]
	v_fma_f64 v[26:27], v[28:29], s[16:17], v[26:27]
	v_add_f64 v[28:29], v[12:13], v[77:78]
	v_fma_f64 v[12:13], v[32:33], s[16:17], v[30:31]
	v_fma_f64 v[32:33], v[32:33], s[18:19], v[30:31]
	v_add_f64 v[30:31], v[14:15], v[34:35]
	v_add_f64 v[34:35], v[34:35], v[36:37]
	;; [unrolled: 1-line block ×3, first 2 shown]
	s_delay_alu instid0(VALU_DEP_3) | instskip(NEXT) | instid1(VALU_DEP_3)
	v_add_f64 v[30:31], v[30:31], v[36:37]
	v_fma_f64 v[34:35], v[34:35], -0.5, v[14:15]
	v_add_f64 v[36:37], v[77:78], -v[79:80]
	s_delay_alu instid0(VALU_DEP_1)
	v_fma_f64 v[14:15], v[36:37], s[18:19], v[34:35]
	v_fma_f64 v[34:35], v[36:37], s[16:17], v[34:35]
	v_add_f64 v[36:37], v[8:9], v[75:76]
	v_fma_f64 v[8:9], v[41:42], s[16:17], v[38:39]
	v_fma_f64 v[41:42], v[41:42], s[18:19], v[38:39]
	v_add_f64 v[38:39], v[10:11], v[43:44]
	s_delay_alu instid0(VALU_DEP_4) | instskip(SKIP_1) | instid1(VALU_DEP_3)
	v_add_f64 v[36:37], v[36:37], v[20:21]
	v_add_f64 v[20:21], v[75:76], -v[20:21]
	v_add_f64 v[38:39], v[38:39], v[22:23]
	v_add_f64 v[22:23], v[43:44], v[22:23]
	s_delay_alu instid0(VALU_DEP_1) | instskip(NEXT) | instid1(VALU_DEP_1)
	v_fma_f64 v[22:23], v[22:23], -0.5, v[10:11]
	v_fma_f64 v[10:11], v[20:21], s[18:19], v[22:23]
	v_fma_f64 v[43:44], v[20:21], s[16:17], v[22:23]
	v_add_f64 v[20:21], v[4:5], v[81:82]
	v_add_f64 v[22:23], v[51:52], -v[53:54]
	s_delay_alu instid0(VALU_DEP_2) | instskip(SKIP_1) | instid1(VALU_DEP_1)
	v_add_f64 v[45:46], v[20:21], v[69:70]
	v_add_f64 v[20:21], v[81:82], v[69:70]
	v_fma_f64 v[20:21], v[20:21], -0.5, v[4:5]
	s_delay_alu instid0(VALU_DEP_1) | instskip(SKIP_3) | instid1(VALU_DEP_2)
	v_fma_f64 v[4:5], v[22:23], s[16:17], v[20:21]
	v_fma_f64 v[49:50], v[22:23], s[18:19], v[20:21]
	v_add_f64 v[20:21], v[6:7], v[51:52]
	v_add_f64 v[22:23], v[81:82], -v[69:70]
	v_add_f64 v[47:48], v[20:21], v[53:54]
	v_add_f64 v[20:21], v[51:52], v[53:54]
	s_delay_alu instid0(VALU_DEP_1) | instskip(NEXT) | instid1(VALU_DEP_1)
	v_fma_f64 v[20:21], v[20:21], -0.5, v[6:7]
	v_fma_f64 v[6:7], v[22:23], s[18:19], v[20:21]
	v_fma_f64 v[51:52], v[22:23], s[16:17], v[20:21]
	v_add_f64 v[20:21], v[0:1], v[83:84]
	v_add_f64 v[22:23], v[59:60], -v[106:107]
	s_delay_alu instid0(VALU_DEP_2) | instskip(SKIP_1) | instid1(VALU_DEP_1)
	v_add_f64 v[53:54], v[20:21], v[71:72]
	v_add_f64 v[20:21], v[83:84], v[71:72]
	v_fma_f64 v[20:21], v[20:21], -0.5, v[0:1]
	s_delay_alu instid0(VALU_DEP_1) | instskip(SKIP_3) | instid1(VALU_DEP_2)
	v_fma_f64 v[0:1], v[22:23], s[16:17], v[20:21]
	v_fma_f64 v[57:58], v[22:23], s[18:19], v[20:21]
	v_add_f64 v[20:21], v[2:3], v[59:60]
	v_add_f64 v[22:23], v[83:84], -v[71:72]
	v_add_f64 v[55:56], v[20:21], v[106:107]
	v_add_f64 v[20:21], v[59:60], v[106:107]
	s_delay_alu instid0(VALU_DEP_1) | instskip(NEXT) | instid1(VALU_DEP_1)
	v_fma_f64 v[20:21], v[20:21], -0.5, v[2:3]
	v_fma_f64 v[2:3], v[22:23], s[18:19], v[20:21]
	v_fma_f64 v[59:60], v[22:23], s[16:17], v[20:21]
	ds_store_b128 v40, v[61:64]
	ds_store_b128 v40, v[16:19] offset:18000
	ds_store_b128 v40, v[24:27] offset:36000
	;; [unrolled: 1-line block ×14, first 2 shown]
	v_add_co_u32 v12, vcc_lo, 0xd2f0, v74
	v_add_co_ci_u32_e32 v13, vcc_lo, 0, v73, vcc_lo
	v_add_co_u32 v4, vcc_lo, 0xd000, v74
	v_add_co_ci_u32_e32 v5, vcc_lo, 0, v73, vcc_lo
	s_waitcnt lgkmcnt(0)
	s_barrier
	buffer_gl0_inv
	global_load_b128 v[4:7], v[4:5], off offset:752
	ds_load_b128 v[0:3], v40
	s_waitcnt vmcnt(0) lgkmcnt(0)
	v_mul_f64 v[8:9], v[2:3], v[6:7]
	s_delay_alu instid0(VALU_DEP_1) | instskip(SKIP_1) | instid1(VALU_DEP_1)
	v_fma_f64 v[8:9], v[0:1], v[4:5], -v[8:9]
	v_mul_f64 v[0:1], v[0:1], v[6:7]
	v_fma_f64 v[10:11], v[2:3], v[4:5], v[0:1]
	v_add_co_u32 v4, vcc_lo, 0xf000, v74
	v_add_co_ci_u32_e32 v5, vcc_lo, 0, v73, vcc_lo
	ds_load_b128 v[0:3], v40 offset:10800
	global_load_b128 v[4:7], v[4:5], off offset:3360
	ds_store_b128 v40, v[8:11]
	s_waitcnt vmcnt(0) lgkmcnt(1)
	v_mul_f64 v[8:9], v[2:3], v[6:7]
	s_delay_alu instid0(VALU_DEP_1) | instskip(SKIP_1) | instid1(VALU_DEP_1)
	v_fma_f64 v[8:9], v[0:1], v[4:5], -v[8:9]
	v_mul_f64 v[0:1], v[0:1], v[6:7]
	v_fma_f64 v[10:11], v[2:3], v[4:5], v[0:1]
	v_add_co_u32 v4, vcc_lo, 0x12000, v74
	v_add_co_ci_u32_e32 v5, vcc_lo, 0, v73, vcc_lo
	ds_load_b128 v[0:3], v40 offset:21600
	v_add_co_u32 v14, vcc_lo, 0x15000, v74
	global_load_b128 v[4:7], v[4:5], off offset:1872
	v_add_co_ci_u32_e32 v15, vcc_lo, 0, v73, vcc_lo
	ds_store_b128 v40, v[8:11] offset:10800
	s_waitcnt vmcnt(0) lgkmcnt(1)
	v_mul_f64 v[8:9], v[2:3], v[6:7]
	s_delay_alu instid0(VALU_DEP_1) | instskip(SKIP_1) | instid1(VALU_DEP_1)
	v_fma_f64 v[8:9], v[0:1], v[4:5], -v[8:9]
	v_mul_f64 v[0:1], v[0:1], v[6:7]
	v_fma_f64 v[10:11], v[2:3], v[4:5], v[0:1]
	global_load_b128 v[4:7], v[14:15], off offset:384
	ds_load_b128 v[0:3], v40 offset:32400
	ds_store_b128 v40, v[8:11] offset:21600
	s_waitcnt vmcnt(0) lgkmcnt(1)
	v_mul_f64 v[8:9], v[2:3], v[6:7]
	s_delay_alu instid0(VALU_DEP_1) | instskip(SKIP_1) | instid1(VALU_DEP_1)
	v_fma_f64 v[8:9], v[0:1], v[4:5], -v[8:9]
	v_mul_f64 v[0:1], v[0:1], v[6:7]
	v_fma_f64 v[10:11], v[2:3], v[4:5], v[0:1]
	v_add_co_u32 v4, vcc_lo, 0x17000, v74
	v_add_co_ci_u32_e32 v5, vcc_lo, 0, v73, vcc_lo
	ds_load_b128 v[0:3], v40 offset:43200
	global_load_b128 v[4:7], v[4:5], off offset:2992
	ds_store_b128 v40, v[8:11] offset:32400
	s_waitcnt vmcnt(0) lgkmcnt(1)
	v_mul_f64 v[8:9], v[2:3], v[6:7]
	s_delay_alu instid0(VALU_DEP_1) | instskip(SKIP_1) | instid1(VALU_DEP_1)
	v_fma_f64 v[8:9], v[0:1], v[4:5], -v[8:9]
	v_mul_f64 v[0:1], v[0:1], v[6:7]
	v_fma_f64 v[10:11], v[2:3], v[4:5], v[0:1]
	global_load_b128 v[4:7], v[12:13], off offset:3600
	ds_load_b128 v[0:3], v40 offset:3600
	ds_store_b128 v40, v[8:11] offset:43200
	s_waitcnt vmcnt(0) lgkmcnt(1)
	v_mul_f64 v[8:9], v[2:3], v[6:7]
	s_delay_alu instid0(VALU_DEP_1) | instskip(SKIP_1) | instid1(VALU_DEP_1)
	v_fma_f64 v[8:9], v[0:1], v[4:5], -v[8:9]
	v_mul_f64 v[0:1], v[0:1], v[6:7]
	v_fma_f64 v[10:11], v[2:3], v[4:5], v[0:1]
	v_add_co_u32 v4, vcc_lo, 0x10000, v74
	v_add_co_ci_u32_e32 v5, vcc_lo, 0, v73, vcc_lo
	ds_load_b128 v[0:3], v40 offset:14400
	global_load_b128 v[4:7], v[4:5], off offset:2864
	ds_store_b128 v40, v[8:11] offset:3600
	s_waitcnt vmcnt(0) lgkmcnt(1)
	v_mul_f64 v[8:9], v[2:3], v[6:7]
	s_delay_alu instid0(VALU_DEP_1) | instskip(SKIP_1) | instid1(VALU_DEP_1)
	v_fma_f64 v[8:9], v[0:1], v[4:5], -v[8:9]
	v_mul_f64 v[0:1], v[0:1], v[6:7]
	v_fma_f64 v[10:11], v[2:3], v[4:5], v[0:1]
	v_add_co_u32 v4, vcc_lo, 0x13000, v74
	v_add_co_ci_u32_e32 v5, vcc_lo, 0, v73, vcc_lo
	ds_load_b128 v[0:3], v40 offset:25200
	global_load_b128 v[4:7], v[4:5], off offset:1376
	ds_store_b128 v40, v[8:11] offset:14400
	s_waitcnt vmcnt(0) lgkmcnt(1)
	v_mul_f64 v[8:9], v[2:3], v[6:7]
	s_delay_alu instid0(VALU_DEP_1) | instskip(SKIP_1) | instid1(VALU_DEP_1)
	v_fma_f64 v[8:9], v[0:1], v[4:5], -v[8:9]
	v_mul_f64 v[0:1], v[0:1], v[6:7]
	v_fma_f64 v[10:11], v[2:3], v[4:5], v[0:1]
	global_load_b128 v[4:7], v[14:15], off offset:3984
	ds_load_b128 v[0:3], v40 offset:36000
	ds_store_b128 v40, v[8:11] offset:25200
	s_waitcnt vmcnt(0) lgkmcnt(1)
	v_mul_f64 v[8:9], v[2:3], v[6:7]
	s_delay_alu instid0(VALU_DEP_1) | instskip(SKIP_1) | instid1(VALU_DEP_1)
	v_fma_f64 v[8:9], v[0:1], v[4:5], -v[8:9]
	v_mul_f64 v[0:1], v[0:1], v[6:7]
	v_fma_f64 v[10:11], v[2:3], v[4:5], v[0:1]
	v_add_co_u32 v4, vcc_lo, 0x18000, v74
	v_add_co_ci_u32_e32 v5, vcc_lo, 0, v73, vcc_lo
	ds_load_b128 v[0:3], v40 offset:46800
	global_load_b128 v[4:7], v[4:5], off offset:2496
	ds_store_b128 v40, v[8:11] offset:36000
	s_waitcnt vmcnt(0) lgkmcnt(1)
	v_mul_f64 v[8:9], v[2:3], v[6:7]
	s_delay_alu instid0(VALU_DEP_1) | instskip(SKIP_1) | instid1(VALU_DEP_1)
	v_fma_f64 v[8:9], v[0:1], v[4:5], -v[8:9]
	v_mul_f64 v[0:1], v[0:1], v[6:7]
	v_fma_f64 v[10:11], v[2:3], v[4:5], v[0:1]
	v_add_co_u32 v4, vcc_lo, 0xe000, v74
	v_add_co_ci_u32_e32 v5, vcc_lo, 0, v73, vcc_lo
	ds_load_b128 v[0:3], v40 offset:7200
	global_load_b128 v[4:7], v[4:5], off offset:3856
	;; [unrolled: 11-line block ×6, first 2 shown]
	ds_store_b128 v40, v[8:11] offset:39600
	s_waitcnt vmcnt(0) lgkmcnt(1)
	v_mul_f64 v[8:9], v[2:3], v[6:7]
	s_delay_alu instid0(VALU_DEP_1) | instskip(SKIP_1) | instid1(VALU_DEP_1)
	v_fma_f64 v[8:9], v[0:1], v[4:5], -v[8:9]
	v_mul_f64 v[0:1], v[0:1], v[6:7]
	v_fma_f64 v[10:11], v[2:3], v[4:5], v[0:1]
	ds_store_b128 v40, v[8:11] offset:50400
	s_waitcnt lgkmcnt(0)
	s_barrier
	buffer_gl0_inv
	ds_load_b128 v[36:39], v40
	ds_load_b128 v[41:44], v40 offset:10800
	ds_load_b128 v[45:48], v40 offset:21600
	;; [unrolled: 1-line block ×14, first 2 shown]
	s_waitcnt lgkmcnt(0)
	s_barrier
	buffer_gl0_inv
	v_add_f64 v[61:62], v[36:37], v[41:42]
	v_add_f64 v[69:70], v[41:42], -v[45:46]
	v_add_f64 v[67:68], v[47:48], -v[51:52]
	;; [unrolled: 1-line block ×4, first 2 shown]
	v_add_f64 v[61:62], v[61:62], v[45:46]
	s_delay_alu instid0(VALU_DEP_2) | instskip(NEXT) | instid1(VALU_DEP_2)
	v_add_f64 v[71:72], v[69:70], v[71:72]
	v_add_f64 v[61:62], v[61:62], v[49:50]
	s_delay_alu instid0(VALU_DEP_1) | instskip(SKIP_1) | instid1(VALU_DEP_1)
	v_add_f64 v[73:74], v[61:62], v[53:54]
	v_add_f64 v[61:62], v[45:46], v[49:50]
	v_fma_f64 v[61:62], v[61:62], -0.5, v[36:37]
	s_delay_alu instid0(VALU_DEP_1) | instskip(SKIP_1) | instid1(VALU_DEP_2)
	v_fma_f64 v[65:66], v[63:64], s[14:15], v[61:62]
	v_fma_f64 v[61:62], v[63:64], s[2:3], v[61:62]
	v_fma_f64 v[65:66], v[67:68], s[10:11], v[65:66]
	s_delay_alu instid0(VALU_DEP_2) | instskip(NEXT) | instid1(VALU_DEP_2)
	v_fma_f64 v[61:62], v[67:68], s[8:9], v[61:62]
	v_fma_f64 v[69:70], v[71:72], s[4:5], v[65:66]
	s_delay_alu instid0(VALU_DEP_2)
	v_fma_f64 v[77:78], v[71:72], s[4:5], v[61:62]
	v_add_f64 v[61:62], v[41:42], v[53:54]
	v_add_f64 v[65:66], v[45:46], -v[41:42]
	v_add_f64 v[71:72], v[49:50], -v[53:54]
	;; [unrolled: 1-line block ×4, first 2 shown]
	v_fma_f64 v[36:37], v[61:62], -0.5, v[36:37]
	s_delay_alu instid0(VALU_DEP_4) | instskip(NEXT) | instid1(VALU_DEP_2)
	v_add_f64 v[65:66], v[65:66], v[71:72]
	v_fma_f64 v[61:62], v[67:68], s[2:3], v[36:37]
	v_fma_f64 v[36:37], v[67:68], s[14:15], v[36:37]
	s_delay_alu instid0(VALU_DEP_2) | instskip(NEXT) | instid1(VALU_DEP_2)
	v_fma_f64 v[61:62], v[63:64], s[10:11], v[61:62]
	v_fma_f64 v[36:37], v[63:64], s[8:9], v[36:37]
	v_add_f64 v[63:64], v[55:56], -v[51:52]
	s_delay_alu instid0(VALU_DEP_3) | instskip(NEXT) | instid1(VALU_DEP_3)
	v_fma_f64 v[61:62], v[65:66], s[4:5], v[61:62]
	v_fma_f64 v[65:66], v[65:66], s[4:5], v[36:37]
	v_add_f64 v[36:37], v[38:39], v[43:44]
	s_delay_alu instid0(VALU_DEP_1) | instskip(NEXT) | instid1(VALU_DEP_1)
	v_add_f64 v[36:37], v[36:37], v[47:48]
	v_add_f64 v[36:37], v[36:37], v[51:52]
	s_delay_alu instid0(VALU_DEP_1) | instskip(SKIP_1) | instid1(VALU_DEP_1)
	v_add_f64 v[75:76], v[36:37], v[55:56]
	v_add_f64 v[36:37], v[47:48], v[51:52]
	v_fma_f64 v[36:37], v[36:37], -0.5, v[38:39]
	s_delay_alu instid0(VALU_DEP_1) | instskip(SKIP_1) | instid1(VALU_DEP_2)
	v_fma_f64 v[53:54], v[41:42], s[2:3], v[36:37]
	v_fma_f64 v[36:37], v[41:42], s[14:15], v[36:37]
	;; [unrolled: 1-line block ×3, first 2 shown]
	v_add_f64 v[53:54], v[43:44], -v[47:48]
	s_delay_alu instid0(VALU_DEP_3) | instskip(NEXT) | instid1(VALU_DEP_2)
	v_fma_f64 v[36:37], v[45:46], s[10:11], v[36:37]
	v_add_f64 v[53:54], v[53:54], v[63:64]
	s_delay_alu instid0(VALU_DEP_1) | instskip(SKIP_4) | instid1(VALU_DEP_4)
	v_fma_f64 v[79:80], v[53:54], s[4:5], v[36:37]
	v_add_f64 v[36:37], v[43:44], v[55:56]
	v_add_f64 v[43:44], v[47:48], -v[43:44]
	v_add_f64 v[47:48], v[51:52], -v[55:56]
	v_fma_f64 v[71:72], v[53:54], s[4:5], v[49:50]
	v_fma_f64 v[36:37], v[36:37], -0.5, v[38:39]
	s_delay_alu instid0(VALU_DEP_3) | instskip(SKIP_1) | instid1(VALU_DEP_3)
	v_add_f64 v[43:44], v[43:44], v[47:48]
	v_add_f64 v[47:48], v[8:9], -v[12:13]
	v_fma_f64 v[38:39], v[45:46], s[14:15], v[36:37]
	v_fma_f64 v[36:37], v[45:46], s[2:3], v[36:37]
	v_add_f64 v[45:46], v[4:5], -v[0:1]
	s_delay_alu instid0(VALU_DEP_3) | instskip(NEXT) | instid1(VALU_DEP_3)
	v_fma_f64 v[38:39], v[41:42], s[8:9], v[38:39]
	v_fma_f64 v[36:37], v[41:42], s[10:11], v[36:37]
	s_delay_alu instid0(VALU_DEP_3) | instskip(NEXT) | instid1(VALU_DEP_3)
	v_add_f64 v[47:48], v[45:46], v[47:48]
	v_fma_f64 v[63:64], v[43:44], s[4:5], v[38:39]
	s_delay_alu instid0(VALU_DEP_3) | instskip(SKIP_3) | instid1(VALU_DEP_3)
	v_fma_f64 v[67:68], v[43:44], s[4:5], v[36:37]
	v_add_f64 v[36:37], v[32:33], v[4:5]
	v_add_f64 v[38:39], v[6:7], -v[10:11]
	v_add_f64 v[43:44], v[2:3], -v[14:15]
	v_add_f64 v[36:37], v[36:37], v[0:1]
	s_delay_alu instid0(VALU_DEP_1) | instskip(NEXT) | instid1(VALU_DEP_1)
	v_add_f64 v[36:37], v[36:37], v[12:13]
	v_add_f64 v[49:50], v[36:37], v[8:9]
	;; [unrolled: 1-line block ×3, first 2 shown]
	s_delay_alu instid0(VALU_DEP_1) | instskip(NEXT) | instid1(VALU_DEP_1)
	v_fma_f64 v[36:37], v[36:37], -0.5, v[32:33]
	v_fma_f64 v[41:42], v[38:39], s[14:15], v[36:37]
	v_fma_f64 v[36:37], v[38:39], s[2:3], v[36:37]
	s_delay_alu instid0(VALU_DEP_2) | instskip(NEXT) | instid1(VALU_DEP_2)
	v_fma_f64 v[41:42], v[43:44], s[10:11], v[41:42]
	v_fma_f64 v[36:37], v[43:44], s[8:9], v[36:37]
	s_delay_alu instid0(VALU_DEP_2) | instskip(NEXT) | instid1(VALU_DEP_2)
	v_fma_f64 v[45:46], v[47:48], s[4:5], v[41:42]
	v_fma_f64 v[53:54], v[47:48], s[4:5], v[36:37]
	v_add_f64 v[36:37], v[4:5], v[8:9]
	v_add_f64 v[41:42], v[0:1], -v[4:5]
	v_add_f64 v[47:48], v[12:13], -v[8:9]
	;; [unrolled: 1-line block ×5, first 2 shown]
	v_fma_f64 v[32:33], v[36:37], -0.5, v[32:33]
	v_add_f64 v[41:42], v[41:42], v[47:48]
	s_delay_alu instid0(VALU_DEP_2) | instskip(SKIP_1) | instid1(VALU_DEP_2)
	v_fma_f64 v[36:37], v[43:44], s[2:3], v[32:33]
	v_fma_f64 v[32:33], v[43:44], s[14:15], v[32:33]
	;; [unrolled: 1-line block ×3, first 2 shown]
	s_delay_alu instid0(VALU_DEP_2) | instskip(SKIP_1) | instid1(VALU_DEP_3)
	v_fma_f64 v[32:33], v[38:39], s[8:9], v[32:33]
	v_add_f64 v[38:39], v[10:11], -v[14:15]
	v_fma_f64 v[36:37], v[41:42], s[4:5], v[36:37]
	s_delay_alu instid0(VALU_DEP_3) | instskip(SKIP_1) | instid1(VALU_DEP_4)
	v_fma_f64 v[41:42], v[41:42], s[4:5], v[32:33]
	v_add_f64 v[32:33], v[34:35], v[6:7]
	v_add_f64 v[12:13], v[12:13], v[38:39]
	s_delay_alu instid0(VALU_DEP_2) | instskip(NEXT) | instid1(VALU_DEP_1)
	v_add_f64 v[32:33], v[32:33], v[2:3]
	v_add_f64 v[32:33], v[32:33], v[14:15]
	s_delay_alu instid0(VALU_DEP_1) | instskip(SKIP_2) | instid1(VALU_DEP_2)
	v_add_f64 v[51:52], v[32:33], v[10:11]
	v_add_f64 v[32:33], v[2:3], v[14:15]
	v_add_f64 v[2:3], v[2:3], -v[6:7]
	v_fma_f64 v[32:33], v[32:33], -0.5, v[34:35]
	s_delay_alu instid0(VALU_DEP_1) | instskip(NEXT) | instid1(VALU_DEP_1)
	v_fma_f64 v[8:9], v[4:5], s[2:3], v[32:33]
	v_fma_f64 v[8:9], v[0:1], s[8:9], v[8:9]
	s_delay_alu instid0(VALU_DEP_1) | instskip(SKIP_2) | instid1(VALU_DEP_2)
	v_fma_f64 v[47:48], v[12:13], s[4:5], v[8:9]
	v_fma_f64 v[8:9], v[4:5], s[14:15], v[32:33]
	v_add_f64 v[32:33], v[28:29], -v[24:25]
	v_fma_f64 v[8:9], v[0:1], s[10:11], v[8:9]
	s_delay_alu instid0(VALU_DEP_1) | instskip(SKIP_4) | instid1(VALU_DEP_4)
	v_fma_f64 v[55:56], v[12:13], s[4:5], v[8:9]
	v_add_f64 v[8:9], v[6:7], v[10:11]
	v_add_f64 v[6:7], v[14:15], -v[10:11]
	v_add_f64 v[10:11], v[18:19], -v[30:31]
	;; [unrolled: 1-line block ×3, first 2 shown]
	v_fma_f64 v[8:9], v[8:9], -0.5, v[34:35]
	s_delay_alu instid0(VALU_DEP_4) | instskip(SKIP_1) | instid1(VALU_DEP_4)
	v_add_f64 v[2:3], v[2:3], v[6:7]
	v_add_f64 v[6:7], v[22:23], -v[26:27]
	v_add_f64 v[14:15], v[14:15], v[32:33]
	s_delay_alu instid0(VALU_DEP_4) | instskip(SKIP_2) | instid1(VALU_DEP_3)
	v_fma_f64 v[12:13], v[0:1], s[14:15], v[8:9]
	v_fma_f64 v[0:1], v[0:1], s[2:3], v[8:9]
	v_add_f64 v[8:9], v[20:21], -v[16:17]
	v_fma_f64 v[12:13], v[4:5], s[8:9], v[12:13]
	s_delay_alu instid0(VALU_DEP_3) | instskip(NEXT) | instid1(VALU_DEP_2)
	v_fma_f64 v[0:1], v[4:5], s[10:11], v[0:1]
	v_fma_f64 v[38:39], v[2:3], s[4:5], v[12:13]
	s_delay_alu instid0(VALU_DEP_2) | instskip(SKIP_3) | instid1(VALU_DEP_3)
	v_fma_f64 v[43:44], v[2:3], s[4:5], v[0:1]
	v_add_f64 v[2:3], v[16:17], v[28:29]
	v_add_f64 v[12:13], v[24:25], -v[28:29]
	v_add_f64 v[0:1], v[57:58], v[20:21]
	v_fma_f64 v[2:3], v[2:3], -0.5, v[57:58]
	s_delay_alu instid0(VALU_DEP_3) | instskip(NEXT) | instid1(VALU_DEP_3)
	v_add_f64 v[8:9], v[8:9], v[12:13]
	v_add_f64 v[0:1], v[0:1], v[16:17]
	v_add_f64 v[16:17], v[16:17], -v[28:29]
	s_delay_alu instid0(VALU_DEP_4) | instskip(SKIP_1) | instid1(VALU_DEP_4)
	v_fma_f64 v[4:5], v[6:7], s[14:15], v[2:3]
	v_fma_f64 v[2:3], v[6:7], s[2:3], v[2:3]
	v_add_f64 v[0:1], v[0:1], v[28:29]
	s_delay_alu instid0(VALU_DEP_3) | instskip(NEXT) | instid1(VALU_DEP_3)
	v_fma_f64 v[4:5], v[10:11], s[10:11], v[4:5]
	v_fma_f64 v[2:3], v[10:11], s[8:9], v[2:3]
	s_delay_alu instid0(VALU_DEP_3) | instskip(NEXT) | instid1(VALU_DEP_3)
	v_add_f64 v[0:1], v[0:1], v[24:25]
	v_fma_f64 v[4:5], v[8:9], s[4:5], v[4:5]
	s_delay_alu instid0(VALU_DEP_3) | instskip(SKIP_3) | instid1(VALU_DEP_3)
	v_fma_f64 v[8:9], v[8:9], s[4:5], v[2:3]
	v_add_f64 v[2:3], v[20:21], v[24:25]
	v_add_f64 v[20:21], v[20:21], -v[24:25]
	v_add_f64 v[24:25], v[26:27], -v[30:31]
	v_fma_f64 v[2:3], v[2:3], -0.5, v[57:58]
	s_delay_alu instid0(VALU_DEP_1) | instskip(SKIP_1) | instid1(VALU_DEP_2)
	v_fma_f64 v[12:13], v[10:11], s[2:3], v[2:3]
	v_fma_f64 v[2:3], v[10:11], s[14:15], v[2:3]
	;; [unrolled: 1-line block ×3, first 2 shown]
	s_delay_alu instid0(VALU_DEP_2) | instskip(SKIP_1) | instid1(VALU_DEP_3)
	v_fma_f64 v[2:3], v[6:7], s[8:9], v[2:3]
	v_add_f64 v[6:7], v[18:19], v[30:31]
	v_fma_f64 v[12:13], v[14:15], s[4:5], v[12:13]
	s_delay_alu instid0(VALU_DEP_3) | instskip(NEXT) | instid1(VALU_DEP_3)
	v_fma_f64 v[32:33], v[14:15], s[4:5], v[2:3]
	v_fma_f64 v[10:11], v[6:7], -0.5, v[59:60]
	v_add_f64 v[14:15], v[22:23], -v[18:19]
	v_add_f64 v[2:3], v[59:60], v[22:23]
	s_delay_alu instid0(VALU_DEP_3) | instskip(SKIP_1) | instid1(VALU_DEP_4)
	v_fma_f64 v[6:7], v[20:21], s[2:3], v[10:11]
	v_fma_f64 v[10:11], v[20:21], s[14:15], v[10:11]
	v_add_f64 v[14:15], v[14:15], v[24:25]
	s_delay_alu instid0(VALU_DEP_4) | instskip(SKIP_3) | instid1(VALU_DEP_4)
	v_add_f64 v[2:3], v[2:3], v[18:19]
	v_add_f64 v[18:19], v[18:19], -v[22:23]
	v_fma_f64 v[6:7], v[16:17], s[8:9], v[6:7]
	v_fma_f64 v[10:11], v[16:17], s[10:11], v[10:11]
	v_add_f64 v[2:3], v[2:3], v[30:31]
	s_delay_alu instid0(VALU_DEP_3) | instskip(NEXT) | instid1(VALU_DEP_3)
	v_fma_f64 v[6:7], v[14:15], s[4:5], v[6:7]
	v_fma_f64 v[10:11], v[14:15], s[4:5], v[10:11]
	v_add_f64 v[14:15], v[22:23], v[26:27]
	v_add_f64 v[22:23], v[30:31], -v[26:27]
	v_add_f64 v[2:3], v[2:3], v[26:27]
	s_delay_alu instid0(VALU_DEP_3) | instskip(NEXT) | instid1(VALU_DEP_3)
	v_fma_f64 v[24:25], v[14:15], -0.5, v[59:60]
	v_add_f64 v[18:19], v[18:19], v[22:23]
	s_delay_alu instid0(VALU_DEP_2) | instskip(SKIP_1) | instid1(VALU_DEP_2)
	v_fma_f64 v[14:15], v[16:17], s[14:15], v[24:25]
	v_fma_f64 v[16:17], v[16:17], s[2:3], v[24:25]
	;; [unrolled: 1-line block ×3, first 2 shown]
	s_delay_alu instid0(VALU_DEP_2) | instskip(NEXT) | instid1(VALU_DEP_2)
	v_fma_f64 v[16:17], v[20:21], s[10:11], v[16:17]
	v_fma_f64 v[14:15], v[18:19], s[4:5], v[14:15]
	s_delay_alu instid0(VALU_DEP_2)
	v_fma_f64 v[34:35], v[18:19], s[4:5], v[16:17]
	scratch_load_b32 v16, off, off offset:256 ; 4-byte Folded Reload
	s_waitcnt vmcnt(0)
	ds_store_b128 v16, v[73:76]
	ds_store_b128 v16, v[69:72] offset:16
	ds_store_b128 v16, v[61:64] offset:32
	ds_store_b128 v16, v[65:68] offset:48
	ds_store_b128 v16, v[77:80] offset:64
	scratch_load_b32 v16, off, off offset:252 ; 4-byte Folded Reload
	s_waitcnt vmcnt(0)
	ds_store_b128 v16, v[49:52]
	ds_store_b128 v16, v[45:48] offset:16
	ds_store_b128 v16, v[36:39] offset:32
	ds_store_b128 v16, v[41:44] offset:48
	ds_store_b128 v16, v[53:56] offset:64
	;; [unrolled: 7-line block ×3, first 2 shown]
	s_waitcnt lgkmcnt(0)
	s_barrier
	buffer_gl0_inv
	ds_load_b128 v[0:3], v40
	ds_load_b128 v[4:7], v40 offset:10800
	ds_load_b128 v[8:11], v40 offset:21600
	;; [unrolled: 1-line block ×14, first 2 shown]
	scratch_load_b128 v[64:67], off, off offset:308 ; 16-byte Folded Reload
	s_waitcnt vmcnt(0) lgkmcnt(13)
	v_mul_f64 v[61:62], v[66:67], v[6:7]
	s_delay_alu instid0(VALU_DEP_1) | instskip(SKIP_1) | instid1(VALU_DEP_1)
	v_fma_f64 v[62:63], v[64:65], v[4:5], v[61:62]
	v_mul_f64 v[4:5], v[66:67], v[4:5]
	v_fma_f64 v[4:5], v[64:65], v[6:7], -v[4:5]
	scratch_load_b128 v[64:67], off, off offset:292 ; 16-byte Folded Reload
	s_waitcnt vmcnt(0) lgkmcnt(12)
	v_mul_f64 v[6:7], v[66:67], v[10:11]
	s_delay_alu instid0(VALU_DEP_1) | instskip(SKIP_1) | instid1(VALU_DEP_1)
	v_fma_f64 v[6:7], v[64:65], v[8:9], v[6:7]
	v_mul_f64 v[8:9], v[66:67], v[8:9]
	v_fma_f64 v[8:9], v[64:65], v[10:11], -v[8:9]
	;; [unrolled: 7-line block ×3, first 2 shown]
	scratch_load_b128 v[64:67], off, off offset:260 ; 16-byte Folded Reload
	s_waitcnt vmcnt(0) lgkmcnt(10)
	v_mul_f64 v[18:19], v[66:67], v[22:23]
	s_delay_alu instid0(VALU_DEP_1)
	v_fma_f64 v[18:19], v[64:65], v[20:21], v[18:19]
	v_mul_f64 v[20:21], v[66:67], v[20:21]
	scratch_load_b128 v[66:69], off, off offset:376 ; 16-byte Folded Reload
	v_fma_f64 v[64:65], v[64:65], v[22:23], -v[20:21]
	s_waitcnt vmcnt(0) lgkmcnt(8)
	v_mul_f64 v[20:21], v[68:69], v[26:27]
	s_delay_alu instid0(VALU_DEP_1)
	v_fma_f64 v[70:71], v[66:67], v[24:25], v[20:21]
	v_mul_f64 v[20:21], v[68:69], v[24:25]
	scratch_load_b128 v[22:25], off, off offset:360 ; 16-byte Folded Reload
	v_fma_f64 v[74:75], v[66:67], v[26:27], -v[20:21]
	;; [unrolled: 7-line block ×3, first 2 shown]
	scratch_load_b128 v[22:25], off, off offset:328 ; 16-byte Folded Reload
	v_add_f64 v[30:31], v[4:5], -v[64:65]
	s_waitcnt vmcnt(0) lgkmcnt(6)
	v_mul_f64 v[20:21], v[24:25], v[34:35]
	s_delay_alu instid0(VALU_DEP_1) | instskip(SKIP_2) | instid1(VALU_DEP_2)
	v_fma_f64 v[80:81], v[22:23], v[32:33], v[20:21]
	v_mul_f64 v[20:21], v[24:25], v[32:33]
	v_add_f64 v[32:33], v[8:9], -v[16:17]
	v_fma_f64 v[82:83], v[22:23], v[34:35], -v[20:21]
	scratch_load_b128 v[22:25], off, off offset:344 ; 16-byte Folded Reload
	s_waitcnt vmcnt(0) lgkmcnt(5)
	v_mul_f64 v[20:21], v[24:25], v[38:39]
	s_delay_alu instid0(VALU_DEP_1) | instskip(SKIP_4) | instid1(VALU_DEP_3)
	v_fma_f64 v[34:35], v[22:23], v[36:37], v[20:21]
	v_mul_f64 v[20:21], v[24:25], v[36:37]
	s_waitcnt lgkmcnt(2)
	v_mul_f64 v[24:25], v[28:29], v[51:52]
	v_add_f64 v[36:37], v[62:63], -v[6:7]
	v_fma_f64 v[106:107], v[22:23], v[38:39], -v[20:21]
	v_mul_f64 v[20:21], v[110:111], v[47:48]
	v_mul_f64 v[22:23], v[110:111], v[45:46]
	v_add_f64 v[38:39], v[18:19], -v[10:11]
	s_delay_alu instid0(VALU_DEP_3) | instskip(NEXT) | instid1(VALU_DEP_3)
	v_fma_f64 v[20:21], v[108:109], v[45:46], v[20:21]
	v_fma_f64 v[22:23], v[108:109], v[47:48], -v[22:23]
	v_fma_f64 v[108:109], v[26:27], v[49:50], v[24:25]
	v_mul_f64 v[24:25], v[28:29], v[49:50]
	v_add_f64 v[36:37], v[36:37], v[38:39]
	v_add_f64 v[38:39], v[10:11], -v[18:19]
	s_delay_alu instid0(VALU_DEP_3) | instskip(SKIP_3) | instid1(VALU_DEP_1)
	v_fma_f64 v[49:50], v[26:27], v[51:52], -v[24:25]
	scratch_load_b128 v[26:29], off, off offset:432 ; 16-byte Folded Reload
	s_waitcnt vmcnt(0) lgkmcnt(1)
	v_mul_f64 v[24:25], v[28:29], v[55:56]
	v_fma_f64 v[51:52], v[26:27], v[53:54], v[24:25]
	v_mul_f64 v[24:25], v[28:29], v[53:54]
	s_delay_alu instid0(VALU_DEP_1)
	v_fma_f64 v[53:54], v[26:27], v[55:56], -v[24:25]
	scratch_load_b128 v[26:29], off, off offset:448 ; 16-byte Folded Reload
	s_waitcnt vmcnt(0) lgkmcnt(0)
	s_barrier
	buffer_gl0_inv
	v_mul_f64 v[24:25], v[28:29], v[59:60]
	s_delay_alu instid0(VALU_DEP_1) | instskip(SKIP_1) | instid1(VALU_DEP_1)
	v_fma_f64 v[55:56], v[26:27], v[57:58], v[24:25]
	v_mul_f64 v[24:25], v[28:29], v[57:58]
	v_fma_f64 v[57:58], v[26:27], v[59:60], -v[24:25]
	v_add_f64 v[26:27], v[6:7], v[10:11]
	v_add_f64 v[24:25], v[0:1], v[62:63]
	s_delay_alu instid0(VALU_DEP_2) | instskip(NEXT) | instid1(VALU_DEP_2)
	v_fma_f64 v[26:27], v[26:27], -0.5, v[0:1]
	v_add_f64 v[24:25], v[24:25], v[6:7]
	s_delay_alu instid0(VALU_DEP_2) | instskip(SKIP_1) | instid1(VALU_DEP_3)
	v_fma_f64 v[28:29], v[30:31], s[14:15], v[26:27]
	v_fma_f64 v[26:27], v[30:31], s[2:3], v[26:27]
	v_add_f64 v[24:25], v[24:25], v[10:11]
	s_delay_alu instid0(VALU_DEP_3) | instskip(NEXT) | instid1(VALU_DEP_3)
	v_fma_f64 v[28:29], v[32:33], s[10:11], v[28:29]
	v_fma_f64 v[26:27], v[32:33], s[8:9], v[26:27]
	s_delay_alu instid0(VALU_DEP_3) | instskip(NEXT) | instid1(VALU_DEP_3)
	v_add_f64 v[24:25], v[24:25], v[18:19]
	v_fma_f64 v[28:29], v[36:37], s[4:5], v[28:29]
	s_delay_alu instid0(VALU_DEP_3) | instskip(SKIP_4) | instid1(VALU_DEP_4)
	v_fma_f64 v[45:46], v[36:37], s[4:5], v[26:27]
	v_add_f64 v[26:27], v[62:63], v[18:19]
	v_add_f64 v[36:37], v[6:7], -v[62:63]
	v_add_f64 v[18:19], v[62:63], -v[18:19]
	;; [unrolled: 1-line block ×3, first 2 shown]
	v_fma_f64 v[0:1], v[26:27], -0.5, v[0:1]
	s_delay_alu instid0(VALU_DEP_4) | instskip(NEXT) | instid1(VALU_DEP_2)
	v_add_f64 v[36:37], v[36:37], v[38:39]
	v_fma_f64 v[26:27], v[32:33], s[2:3], v[0:1]
	v_fma_f64 v[0:1], v[32:33], s[14:15], v[0:1]
	v_add_f64 v[32:33], v[64:65], -v[16:17]
	s_delay_alu instid0(VALU_DEP_3) | instskip(NEXT) | instid1(VALU_DEP_3)
	v_fma_f64 v[26:27], v[30:31], s[10:11], v[26:27]
	v_fma_f64 v[0:1], v[30:31], s[8:9], v[0:1]
	s_delay_alu instid0(VALU_DEP_2) | instskip(NEXT) | instid1(VALU_DEP_2)
	v_fma_f64 v[60:61], v[36:37], s[4:5], v[26:27]
	v_fma_f64 v[36:37], v[36:37], s[4:5], v[0:1]
	v_add_f64 v[0:1], v[2:3], v[4:5]
	s_delay_alu instid0(VALU_DEP_1) | instskip(NEXT) | instid1(VALU_DEP_1)
	v_add_f64 v[0:1], v[0:1], v[8:9]
	v_add_f64 v[0:1], v[0:1], v[16:17]
	s_delay_alu instid0(VALU_DEP_1) | instskip(SKIP_1) | instid1(VALU_DEP_1)
	v_add_f64 v[26:27], v[0:1], v[64:65]
	v_add_f64 v[0:1], v[8:9], v[16:17]
	v_fma_f64 v[0:1], v[0:1], -0.5, v[2:3]
	s_delay_alu instid0(VALU_DEP_1) | instskip(SKIP_1) | instid1(VALU_DEP_2)
	v_fma_f64 v[30:31], v[18:19], s[2:3], v[0:1]
	v_fma_f64 v[0:1], v[18:19], s[14:15], v[0:1]
	;; [unrolled: 1-line block ×3, first 2 shown]
	v_add_f64 v[30:31], v[4:5], -v[8:9]
	s_delay_alu instid0(VALU_DEP_3) | instskip(NEXT) | instid1(VALU_DEP_2)
	v_fma_f64 v[0:1], v[6:7], s[10:11], v[0:1]
	v_add_f64 v[32:33], v[30:31], v[32:33]
	s_delay_alu instid0(VALU_DEP_1)
	v_fma_f64 v[47:48], v[32:33], s[4:5], v[0:1]
	v_add_f64 v[0:1], v[4:5], v[64:65]
	v_add_f64 v[4:5], v[8:9], -v[4:5]
	v_add_f64 v[8:9], v[16:17], -v[64:65]
	v_fma_f64 v[30:31], v[32:33], s[4:5], v[10:11]
	v_add_f64 v[10:11], v[34:35], -v[80:81]
	v_add_f64 v[16:17], v[55:56], -v[51:52]
	v_fma_f64 v[0:1], v[0:1], -0.5, v[2:3]
	v_add_f64 v[4:5], v[4:5], v[8:9]
	v_add_f64 v[8:9], v[70:71], -v[76:77]
	s_delay_alu instid0(VALU_DEP_3) | instskip(SKIP_2) | instid1(VALU_DEP_4)
	v_fma_f64 v[2:3], v[6:7], s[14:15], v[0:1]
	v_fma_f64 v[0:1], v[6:7], s[2:3], v[0:1]
	v_add_f64 v[6:7], v[78:79], -v[82:83]
	v_add_f64 v[8:9], v[8:9], v[10:11]
	v_add_f64 v[10:11], v[80:81], -v[34:35]
	v_fma_f64 v[2:3], v[18:19], s[8:9], v[2:3]
	v_fma_f64 v[0:1], v[18:19], s[10:11], v[0:1]
	v_add_f64 v[18:19], v[51:52], -v[55:56]
	s_delay_alu instid0(VALU_DEP_3) | instskip(NEXT) | instid1(VALU_DEP_3)
	v_fma_f64 v[62:63], v[4:5], s[4:5], v[2:3]
	v_fma_f64 v[38:39], v[4:5], s[4:5], v[0:1]
	v_add_f64 v[0:1], v[41:42], v[70:71]
	v_add_f64 v[2:3], v[74:75], -v[106:107]
	s_delay_alu instid0(VALU_DEP_2) | instskip(NEXT) | instid1(VALU_DEP_1)
	v_add_f64 v[0:1], v[0:1], v[76:77]
	v_add_f64 v[0:1], v[0:1], v[80:81]
	s_delay_alu instid0(VALU_DEP_1) | instskip(SKIP_1) | instid1(VALU_DEP_1)
	v_add_f64 v[64:65], v[0:1], v[34:35]
	v_add_f64 v[0:1], v[76:77], v[80:81]
	v_fma_f64 v[0:1], v[0:1], -0.5, v[41:42]
	s_delay_alu instid0(VALU_DEP_1) | instskip(SKIP_1) | instid1(VALU_DEP_2)
	v_fma_f64 v[4:5], v[2:3], s[14:15], v[0:1]
	v_fma_f64 v[0:1], v[2:3], s[2:3], v[0:1]
	;; [unrolled: 1-line block ×3, first 2 shown]
	s_delay_alu instid0(VALU_DEP_2) | instskip(NEXT) | instid1(VALU_DEP_2)
	v_fma_f64 v[0:1], v[6:7], s[8:9], v[0:1]
	v_fma_f64 v[68:69], v[8:9], s[4:5], v[4:5]
	s_delay_alu instid0(VALU_DEP_2) | instskip(SKIP_2) | instid1(VALU_DEP_2)
	v_fma_f64 v[32:33], v[8:9], s[4:5], v[0:1]
	v_add_f64 v[0:1], v[70:71], v[34:35]
	v_add_f64 v[8:9], v[76:77], -v[70:71]
	v_fma_f64 v[0:1], v[0:1], -0.5, v[41:42]
	s_delay_alu instid0(VALU_DEP_2) | instskip(SKIP_1) | instid1(VALU_DEP_3)
	v_add_f64 v[8:9], v[8:9], v[10:11]
	v_add_f64 v[10:11], v[106:107], -v[82:83]
	v_fma_f64 v[4:5], v[6:7], s[2:3], v[0:1]
	v_fma_f64 v[0:1], v[6:7], s[14:15], v[0:1]
	v_add_f64 v[6:7], v[76:77], -v[80:81]
	s_delay_alu instid0(VALU_DEP_3) | instskip(NEXT) | instid1(VALU_DEP_3)
	v_fma_f64 v[4:5], v[2:3], s[10:11], v[4:5]
	v_fma_f64 v[0:1], v[2:3], s[8:9], v[0:1]
	v_add_f64 v[2:3], v[70:71], -v[34:35]
	s_delay_alu instid0(VALU_DEP_3) | instskip(NEXT) | instid1(VALU_DEP_3)
	v_fma_f64 v[41:42], v[8:9], s[4:5], v[4:5]
	v_fma_f64 v[72:73], v[8:9], s[4:5], v[0:1]
	v_add_f64 v[0:1], v[43:44], v[74:75]
	v_add_f64 v[8:9], v[74:75], -v[78:79]
	s_delay_alu instid0(VALU_DEP_2) | instskip(NEXT) | instid1(VALU_DEP_2)
	v_add_f64 v[0:1], v[0:1], v[78:79]
	v_add_f64 v[8:9], v[8:9], v[10:11]
	v_add_f64 v[10:11], v[82:83], -v[106:107]
	s_delay_alu instid0(VALU_DEP_3) | instskip(NEXT) | instid1(VALU_DEP_1)
	v_add_f64 v[0:1], v[0:1], v[82:83]
	v_add_f64 v[66:67], v[0:1], v[106:107]
	;; [unrolled: 1-line block ×3, first 2 shown]
	s_delay_alu instid0(VALU_DEP_1) | instskip(NEXT) | instid1(VALU_DEP_1)
	v_fma_f64 v[0:1], v[0:1], -0.5, v[43:44]
	v_fma_f64 v[4:5], v[2:3], s[2:3], v[0:1]
	v_fma_f64 v[0:1], v[2:3], s[14:15], v[0:1]
	s_delay_alu instid0(VALU_DEP_2) | instskip(NEXT) | instid1(VALU_DEP_2)
	v_fma_f64 v[4:5], v[6:7], s[8:9], v[4:5]
	v_fma_f64 v[0:1], v[6:7], s[10:11], v[0:1]
	s_delay_alu instid0(VALU_DEP_2) | instskip(NEXT) | instid1(VALU_DEP_2)
	v_fma_f64 v[70:71], v[8:9], s[4:5], v[4:5]
	v_fma_f64 v[34:35], v[8:9], s[4:5], v[0:1]
	v_add_f64 v[0:1], v[74:75], v[106:107]
	v_add_f64 v[8:9], v[78:79], -v[74:75]
	s_delay_alu instid0(VALU_DEP_2) | instskip(NEXT) | instid1(VALU_DEP_2)
	v_fma_f64 v[0:1], v[0:1], -0.5, v[43:44]
	v_add_f64 v[8:9], v[8:9], v[10:11]
	v_add_f64 v[10:11], v[49:50], -v[53:54]
	s_delay_alu instid0(VALU_DEP_3) | instskip(SKIP_1) | instid1(VALU_DEP_2)
	v_fma_f64 v[4:5], v[6:7], s[14:15], v[0:1]
	v_fma_f64 v[0:1], v[6:7], s[2:3], v[0:1]
	;; [unrolled: 1-line block ×3, first 2 shown]
	s_delay_alu instid0(VALU_DEP_2) | instskip(SKIP_1) | instid1(VALU_DEP_3)
	v_fma_f64 v[0:1], v[2:3], s[10:11], v[0:1]
	v_add_f64 v[2:3], v[22:23], -v[57:58]
	v_fma_f64 v[43:44], v[8:9], s[4:5], v[4:5]
	s_delay_alu instid0(VALU_DEP_3) | instskip(SKIP_2) | instid1(VALU_DEP_2)
	v_fma_f64 v[74:75], v[8:9], s[4:5], v[0:1]
	v_add_f64 v[0:1], v[12:13], v[20:21]
	v_add_f64 v[8:9], v[20:21], -v[108:109]
	v_add_f64 v[0:1], v[0:1], v[108:109]
	s_delay_alu instid0(VALU_DEP_2) | instskip(NEXT) | instid1(VALU_DEP_2)
	v_add_f64 v[16:17], v[8:9], v[16:17]
	v_add_f64 v[0:1], v[0:1], v[51:52]
	s_delay_alu instid0(VALU_DEP_1) | instskip(SKIP_2) | instid1(VALU_DEP_2)
	v_add_f64 v[4:5], v[0:1], v[55:56]
	v_add_f64 v[0:1], v[108:109], v[51:52]
	v_add_f64 v[51:52], v[108:109], -v[51:52]
	v_fma_f64 v[0:1], v[0:1], -0.5, v[12:13]
	s_delay_alu instid0(VALU_DEP_1) | instskip(SKIP_1) | instid1(VALU_DEP_2)
	v_fma_f64 v[6:7], v[2:3], s[14:15], v[0:1]
	v_fma_f64 v[0:1], v[2:3], s[2:3], v[0:1]
	;; [unrolled: 1-line block ×3, first 2 shown]
	s_delay_alu instid0(VALU_DEP_2) | instskip(NEXT) | instid1(VALU_DEP_2)
	v_fma_f64 v[0:1], v[10:11], s[8:9], v[0:1]
	v_fma_f64 v[8:9], v[16:17], s[4:5], v[6:7]
	v_add_f64 v[6:7], v[20:21], v[55:56]
	s_delay_alu instid0(VALU_DEP_3) | instskip(SKIP_4) | instid1(VALU_DEP_4)
	v_fma_f64 v[0:1], v[16:17], s[4:5], v[0:1]
	v_add_f64 v[16:17], v[108:109], -v[20:21]
	v_add_f64 v[20:21], v[20:21], -v[55:56]
	;; [unrolled: 1-line block ×3, first 2 shown]
	v_fma_f64 v[6:7], v[6:7], -0.5, v[12:13]
	v_add_f64 v[18:19], v[16:17], v[18:19]
	s_delay_alu instid0(VALU_DEP_2) | instskip(SKIP_1) | instid1(VALU_DEP_2)
	v_fma_f64 v[12:13], v[10:11], s[2:3], v[6:7]
	v_fma_f64 v[6:7], v[10:11], s[14:15], v[6:7]
	;; [unrolled: 1-line block ×3, first 2 shown]
	s_delay_alu instid0(VALU_DEP_2) | instskip(NEXT) | instid1(VALU_DEP_2)
	v_fma_f64 v[2:3], v[2:3], s[8:9], v[6:7]
	v_fma_f64 v[16:17], v[18:19], s[4:5], v[12:13]
	s_delay_alu instid0(VALU_DEP_2) | instskip(SKIP_2) | instid1(VALU_DEP_2)
	v_fma_f64 v[12:13], v[18:19], s[4:5], v[2:3]
	v_add_f64 v[2:3], v[14:15], v[22:23]
	v_add_f64 v[18:19], v[22:23], -v[49:50]
	v_add_f64 v[2:3], v[2:3], v[49:50]
	s_delay_alu instid0(VALU_DEP_2) | instskip(NEXT) | instid1(VALU_DEP_2)
	v_add_f64 v[18:19], v[18:19], v[55:56]
	v_add_f64 v[2:3], v[2:3], v[53:54]
	s_delay_alu instid0(VALU_DEP_1) | instskip(SKIP_1) | instid1(VALU_DEP_1)
	v_add_f64 v[6:7], v[2:3], v[57:58]
	v_add_f64 v[2:3], v[49:50], v[53:54]
	v_fma_f64 v[2:3], v[2:3], -0.5, v[14:15]
	s_delay_alu instid0(VALU_DEP_1) | instskip(SKIP_1) | instid1(VALU_DEP_2)
	v_fma_f64 v[10:11], v[20:21], s[2:3], v[2:3]
	v_fma_f64 v[2:3], v[20:21], s[14:15], v[2:3]
	;; [unrolled: 1-line block ×3, first 2 shown]
	s_delay_alu instid0(VALU_DEP_2) | instskip(NEXT) | instid1(VALU_DEP_2)
	v_fma_f64 v[2:3], v[51:52], s[10:11], v[2:3]
	v_fma_f64 v[10:11], v[18:19], s[4:5], v[10:11]
	s_delay_alu instid0(VALU_DEP_2) | instskip(SKIP_3) | instid1(VALU_DEP_3)
	v_fma_f64 v[2:3], v[18:19], s[4:5], v[2:3]
	v_add_f64 v[18:19], v[22:23], v[57:58]
	v_add_f64 v[22:23], v[49:50], -v[22:23]
	v_add_f64 v[49:50], v[53:54], -v[57:58]
	v_fma_f64 v[14:15], v[18:19], -0.5, v[14:15]
	s_delay_alu instid0(VALU_DEP_2) | instskip(NEXT) | instid1(VALU_DEP_2)
	v_add_f64 v[22:23], v[22:23], v[49:50]
	v_fma_f64 v[18:19], v[51:52], s[14:15], v[14:15]
	v_fma_f64 v[14:15], v[51:52], s[2:3], v[14:15]
	s_delay_alu instid0(VALU_DEP_2) | instskip(NEXT) | instid1(VALU_DEP_2)
	v_fma_f64 v[18:19], v[20:21], s[8:9], v[18:19]
	v_fma_f64 v[14:15], v[20:21], s[10:11], v[14:15]
	scratch_load_b32 v20, off, off offset:464 ; 4-byte Folded Reload
	s_waitcnt vmcnt(0)
	ds_store_b128 v20, v[24:27]
	ds_store_b128 v20, v[28:31] offset:80
	ds_store_b128 v20, v[60:63] offset:160
	;; [unrolled: 1-line block ×4, first 2 shown]
	scratch_load_b32 v20, off, off offset:412 ; 4-byte Folded Reload
	s_waitcnt vmcnt(0)
	ds_store_b128 v20, v[64:67]
	ds_store_b128 v20, v[68:71] offset:80
	ds_store_b128 v20, v[41:44] offset:160
	;; [unrolled: 1-line block ×4, first 2 shown]
	scratch_load_b32 v20, off, off offset:392 ; 4-byte Folded Reload
	v_fma_f64 v[18:19], v[22:23], s[4:5], v[18:19]
	v_fma_f64 v[14:15], v[22:23], s[4:5], v[14:15]
	s_waitcnt vmcnt(0)
	ds_store_b128 v20, v[4:7]
	ds_store_b128 v20, v[8:11] offset:80
	ds_store_b128 v20, v[16:19] offset:160
	;; [unrolled: 1-line block ×4, first 2 shown]
	s_waitcnt lgkmcnt(0)
	s_barrier
	buffer_gl0_inv
	ds_load_b128 v[12:15], v40
	ds_load_b128 v[0:3], v40 offset:10800
	ds_load_b128 v[4:7], v40 offset:21600
	;; [unrolled: 1-line block ×14, first 2 shown]
	s_waitcnt lgkmcnt(13)
	v_mul_f64 v[61:62], v[122:123], v[2:3]
	s_delay_alu instid0(VALU_DEP_1) | instskip(SKIP_1) | instid1(VALU_DEP_1)
	v_fma_f64 v[61:62], v[120:121], v[0:1], v[61:62]
	v_mul_f64 v[0:1], v[122:123], v[0:1]
	v_fma_f64 v[63:64], v[120:121], v[2:3], -v[0:1]
	s_waitcnt lgkmcnt(12)
	v_mul_f64 v[0:1], v[118:119], v[6:7]
	s_delay_alu instid0(VALU_DEP_1) | instskip(SKIP_1) | instid1(VALU_DEP_1)
	v_fma_f64 v[2:3], v[116:117], v[4:5], v[0:1]
	v_mul_f64 v[0:1], v[118:119], v[4:5]
	v_fma_f64 v[65:66], v[116:117], v[6:7], -v[0:1]
	scratch_load_b128 v[4:7], off, off offset:396 ; 16-byte Folded Reload
	s_waitcnt lgkmcnt(11)
	v_mul_f64 v[0:1], v[114:115], v[10:11]
	s_waitcnt vmcnt(0) lgkmcnt(0)
	s_barrier
	buffer_gl0_inv
	v_fma_f64 v[67:68], v[112:113], v[8:9], v[0:1]
	v_mul_f64 v[0:1], v[114:115], v[8:9]
	s_delay_alu instid0(VALU_DEP_1) | instskip(SKIP_1) | instid1(VALU_DEP_1)
	v_fma_f64 v[69:70], v[112:113], v[10:11], -v[0:1]
	v_mul_f64 v[0:1], v[6:7], v[18:19]
	v_fma_f64 v[10:11], v[4:5], v[16:17], v[0:1]
	v_mul_f64 v[0:1], v[6:7], v[16:17]
	v_add_f64 v[16:17], v[61:62], -v[2:3]
	s_delay_alu instid0(VALU_DEP_2) | instskip(SKIP_1) | instid1(VALU_DEP_2)
	v_fma_f64 v[18:19], v[4:5], v[18:19], -v[0:1]
	v_mul_f64 v[0:1], v[146:147], v[26:27]
	v_add_f64 v[6:7], v[63:64], -v[18:19]
	s_delay_alu instid0(VALU_DEP_2) | instskip(SKIP_1) | instid1(VALU_DEP_1)
	v_fma_f64 v[71:72], v[144:145], v[24:25], v[0:1]
	v_mul_f64 v[0:1], v[146:147], v[24:25]
	v_fma_f64 v[24:25], v[144:145], v[26:27], -v[0:1]
	v_mul_f64 v[0:1], v[138:139], v[30:31]
	s_delay_alu instid0(VALU_DEP_1) | instskip(SKIP_1) | instid1(VALU_DEP_1)
	v_fma_f64 v[26:27], v[136:137], v[28:29], v[0:1]
	v_mul_f64 v[0:1], v[138:139], v[28:29]
	v_fma_f64 v[28:29], v[136:137], v[30:31], -v[0:1]
	v_mul_f64 v[0:1], v[130:131], v[38:39]
	s_delay_alu instid0(VALU_DEP_1) | instskip(SKIP_1) | instid1(VALU_DEP_1)
	;; [unrolled: 5-line block ×3, first 2 shown]
	v_fma_f64 v[38:39], v[124:125], v[41:42], v[0:1]
	v_mul_f64 v[0:1], v[126:127], v[41:42]
	v_fma_f64 v[41:42], v[124:125], v[43:44], -v[0:1]
	v_mul_f64 v[0:1], v[162:163], v[47:48]
	v_add_f64 v[43:44], v[65:66], -v[69:70]
	s_delay_alu instid0(VALU_DEP_2) | instskip(SKIP_2) | instid1(VALU_DEP_2)
	v_fma_f64 v[73:74], v[160:161], v[45:46], v[0:1]
	v_mul_f64 v[0:1], v[162:163], v[45:46]
	v_add_f64 v[45:46], v[10:11], -v[67:68]
	v_fma_f64 v[75:76], v[160:161], v[47:48], -v[0:1]
	v_mul_f64 v[0:1], v[158:159], v[51:52]
	s_delay_alu instid0(VALU_DEP_3) | instskip(SKIP_2) | instid1(VALU_DEP_4)
	v_add_f64 v[16:17], v[16:17], v[45:46]
	v_add_f64 v[45:46], v[2:3], -v[61:62]
	v_add_f64 v[47:48], v[67:68], -v[10:11]
	v_fma_f64 v[77:78], v[156:157], v[49:50], v[0:1]
	v_mul_f64 v[0:1], v[158:159], v[49:50]
	v_add_f64 v[49:50], v[18:19], -v[69:70]
	s_delay_alu instid0(VALU_DEP_4) | instskip(SKIP_1) | instid1(VALU_DEP_4)
	v_add_f64 v[45:46], v[45:46], v[47:48]
	v_add_f64 v[47:48], v[2:3], -v[67:68]
	v_fma_f64 v[79:80], v[156:157], v[51:52], -v[0:1]
	v_mul_f64 v[0:1], v[154:155], v[55:56]
	s_delay_alu instid0(VALU_DEP_1) | instskip(SKIP_2) | instid1(VALU_DEP_2)
	v_fma_f64 v[81:82], v[152:153], v[53:54], v[0:1]
	v_mul_f64 v[0:1], v[154:155], v[53:54]
	v_add_f64 v[52:53], v[28:29], -v[36:37]
	v_fma_f64 v[83:84], v[152:153], v[55:56], -v[0:1]
	v_mul_f64 v[0:1], v[150:151], v[59:60]
	v_add_f64 v[54:55], v[71:72], -v[26:27]
	s_delay_alu instid0(VALU_DEP_2) | instskip(SKIP_2) | instid1(VALU_DEP_2)
	v_fma_f64 v[106:107], v[148:149], v[57:58], v[0:1]
	v_mul_f64 v[0:1], v[150:151], v[57:58]
	v_add_f64 v[56:57], v[38:39], -v[30:31]
	v_fma_f64 v[108:109], v[148:149], v[59:60], -v[0:1]
	v_add_f64 v[0:1], v[12:13], v[61:62]
	s_delay_alu instid0(VALU_DEP_3) | instskip(SKIP_1) | instid1(VALU_DEP_3)
	v_add_f64 v[54:55], v[54:55], v[56:57]
	v_add_f64 v[56:57], v[30:31], -v[38:39]
	v_add_f64 v[0:1], v[0:1], v[2:3]
	s_delay_alu instid0(VALU_DEP_1) | instskip(NEXT) | instid1(VALU_DEP_1)
	v_add_f64 v[0:1], v[0:1], v[67:68]
	v_add_f64 v[4:5], v[0:1], v[10:11]
	;; [unrolled: 1-line block ×3, first 2 shown]
	s_delay_alu instid0(VALU_DEP_1) | instskip(NEXT) | instid1(VALU_DEP_1)
	v_fma_f64 v[0:1], v[0:1], -0.5, v[12:13]
	v_fma_f64 v[8:9], v[6:7], s[14:15], v[0:1]
	v_fma_f64 v[0:1], v[6:7], s[2:3], v[0:1]
	s_delay_alu instid0(VALU_DEP_2) | instskip(NEXT) | instid1(VALU_DEP_2)
	v_fma_f64 v[8:9], v[43:44], s[10:11], v[8:9]
	v_fma_f64 v[0:1], v[43:44], s[8:9], v[0:1]
	s_delay_alu instid0(VALU_DEP_2) | instskip(NEXT) | instid1(VALU_DEP_2)
	v_fma_f64 v[8:9], v[16:17], s[4:5], v[8:9]
	v_fma_f64 v[0:1], v[16:17], s[4:5], v[0:1]
	v_add_f64 v[16:17], v[61:62], v[10:11]
	s_delay_alu instid0(VALU_DEP_1) | instskip(NEXT) | instid1(VALU_DEP_1)
	v_fma_f64 v[12:13], v[16:17], -0.5, v[12:13]
	v_fma_f64 v[16:17], v[43:44], s[2:3], v[12:13]
	v_fma_f64 v[12:13], v[43:44], s[14:15], v[12:13]
	v_add_f64 v[43:44], v[65:66], v[69:70]
	s_delay_alu instid0(VALU_DEP_3) | instskip(NEXT) | instid1(VALU_DEP_3)
	v_fma_f64 v[16:17], v[6:7], s[10:11], v[16:17]
	v_fma_f64 v[6:7], v[6:7], s[8:9], v[12:13]
	s_delay_alu instid0(VALU_DEP_3) | instskip(NEXT) | instid1(VALU_DEP_3)
	v_fma_f64 v[43:44], v[43:44], -0.5, v[14:15]
	v_fma_f64 v[16:17], v[45:46], s[4:5], v[16:17]
	s_delay_alu instid0(VALU_DEP_3) | instskip(SKIP_2) | instid1(VALU_DEP_2)
	v_fma_f64 v[12:13], v[45:46], s[4:5], v[6:7]
	v_add_f64 v[45:46], v[61:62], -v[10:11]
	v_add_f64 v[6:7], v[14:15], v[63:64]
	v_fma_f64 v[10:11], v[45:46], s[2:3], v[43:44]
	s_delay_alu instid0(VALU_DEP_2) | instskip(NEXT) | instid1(VALU_DEP_2)
	v_add_f64 v[6:7], v[6:7], v[65:66]
	v_fma_f64 v[2:3], v[47:48], s[8:9], v[10:11]
	v_add_f64 v[10:11], v[63:64], -v[65:66]
	s_delay_alu instid0(VALU_DEP_3) | instskip(NEXT) | instid1(VALU_DEP_2)
	v_add_f64 v[6:7], v[6:7], v[69:70]
	v_add_f64 v[49:50], v[10:11], v[49:50]
	s_delay_alu instid0(VALU_DEP_2) | instskip(NEXT) | instid1(VALU_DEP_2)
	v_add_f64 v[6:7], v[6:7], v[18:19]
	v_fma_f64 v[10:11], v[49:50], s[4:5], v[2:3]
	v_fma_f64 v[2:3], v[45:46], s[14:15], v[43:44]
	v_add_f64 v[43:44], v[63:64], v[18:19]
	v_add_f64 v[18:19], v[69:70], -v[18:19]
	v_add_f64 v[68:69], v[83:84], -v[108:109]
	s_delay_alu instid0(VALU_DEP_4) | instskip(NEXT) | instid1(VALU_DEP_4)
	v_fma_f64 v[2:3], v[47:48], s[10:11], v[2:3]
	v_fma_f64 v[14:15], v[43:44], -0.5, v[14:15]
	s_delay_alu instid0(VALU_DEP_2) | instskip(NEXT) | instid1(VALU_DEP_2)
	v_fma_f64 v[2:3], v[49:50], s[4:5], v[2:3]
	v_fma_f64 v[43:44], v[47:48], s[14:15], v[14:15]
	v_add_f64 v[49:50], v[65:66], -v[63:64]
	v_fma_f64 v[14:15], v[47:48], s[2:3], v[14:15]
	v_add_f64 v[64:65], v[77:78], -v[81:82]
	v_add_f64 v[66:67], v[108:109], -v[83:84]
	v_fma_f64 v[43:44], v[45:46], s[8:9], v[43:44]
	v_add_f64 v[49:50], v[49:50], v[18:19]
	v_fma_f64 v[14:15], v[45:46], s[10:11], v[14:15]
	v_add_f64 v[46:47], v[26:27], v[30:31]
	s_delay_alu instid0(VALU_DEP_3) | instskip(NEXT) | instid1(VALU_DEP_3)
	v_fma_f64 v[18:19], v[49:50], s[4:5], v[43:44]
	v_fma_f64 v[14:15], v[49:50], s[4:5], v[14:15]
	s_delay_alu instid0(VALU_DEP_3)
	v_fma_f64 v[46:47], v[46:47], -0.5, v[20:21]
	v_add_f64 v[50:51], v[24:25], -v[41:42]
	v_add_f64 v[43:44], v[20:21], v[71:72]
	ds_store_b128 v105, v[4:7]
	ds_store_b128 v105, v[8:11] offset:400
	ds_store_b128 v105, v[16:19] offset:800
	ds_store_b128 v105, v[12:15] offset:1200
	ds_store_b128 v105, v[0:3] offset:1600
	scratch_load_b32 v0, off, off offset:472 ; 4-byte Folded Reload
	v_fma_f64 v[48:49], v[50:51], s[14:15], v[46:47]
	v_fma_f64 v[46:47], v[50:51], s[2:3], v[46:47]
	v_add_f64 v[43:44], v[43:44], v[26:27]
	s_delay_alu instid0(VALU_DEP_3) | instskip(NEXT) | instid1(VALU_DEP_3)
	v_fma_f64 v[48:49], v[52:53], s[10:11], v[48:49]
	v_fma_f64 v[46:47], v[52:53], s[8:9], v[46:47]
	s_delay_alu instid0(VALU_DEP_3) | instskip(NEXT) | instid1(VALU_DEP_3)
	v_add_f64 v[43:44], v[43:44], v[30:31]
	v_fma_f64 v[48:49], v[54:55], s[4:5], v[48:49]
	s_delay_alu instid0(VALU_DEP_3)
	v_fma_f64 v[60:61], v[54:55], s[4:5], v[46:47]
	v_add_f64 v[46:47], v[71:72], v[38:39]
	v_add_f64 v[54:55], v[26:27], -v[71:72]
	v_add_f64 v[44:45], v[43:44], v[38:39]
	v_add_f64 v[38:39], v[71:72], -v[38:39]
	v_add_f64 v[26:27], v[26:27], -v[30:31]
	v_fma_f64 v[20:21], v[46:47], -0.5, v[20:21]
	v_add_f64 v[54:55], v[54:55], v[56:57]
	s_delay_alu instid0(VALU_DEP_2) | instskip(SKIP_1) | instid1(VALU_DEP_2)
	v_fma_f64 v[46:47], v[52:53], s[2:3], v[20:21]
	v_fma_f64 v[20:21], v[52:53], s[14:15], v[20:21]
	;; [unrolled: 1-line block ×3, first 2 shown]
	s_delay_alu instid0(VALU_DEP_2) | instskip(NEXT) | instid1(VALU_DEP_2)
	v_fma_f64 v[20:21], v[50:51], s[8:9], v[20:21]
	v_fma_f64 v[56:57], v[54:55], s[4:5], v[46:47]
	s_delay_alu instid0(VALU_DEP_2) | instskip(SKIP_2) | instid1(VALU_DEP_2)
	v_fma_f64 v[52:53], v[54:55], s[4:5], v[20:21]
	v_add_f64 v[20:21], v[22:23], v[24:25]
	v_add_f64 v[54:55], v[41:42], -v[36:37]
	v_add_f64 v[20:21], v[20:21], v[28:29]
	s_delay_alu instid0(VALU_DEP_1) | instskip(NEXT) | instid1(VALU_DEP_1)
	v_add_f64 v[20:21], v[20:21], v[36:37]
	v_add_f64 v[46:47], v[20:21], v[41:42]
	v_add_f64 v[20:21], v[28:29], v[36:37]
	s_delay_alu instid0(VALU_DEP_1) | instskip(NEXT) | instid1(VALU_DEP_1)
	v_fma_f64 v[20:21], v[20:21], -0.5, v[22:23]
	v_fma_f64 v[50:51], v[38:39], s[2:3], v[20:21]
	v_fma_f64 v[20:21], v[38:39], s[14:15], v[20:21]
	s_delay_alu instid0(VALU_DEP_2) | instskip(SKIP_1) | instid1(VALU_DEP_3)
	v_fma_f64 v[30:31], v[26:27], s[8:9], v[50:51]
	v_add_f64 v[50:51], v[24:25], -v[28:29]
	v_fma_f64 v[20:21], v[26:27], s[10:11], v[20:21]
	s_delay_alu instid0(VALU_DEP_2) | instskip(NEXT) | instid1(VALU_DEP_1)
	v_add_f64 v[54:55], v[50:51], v[54:55]
	v_fma_f64 v[62:63], v[54:55], s[4:5], v[20:21]
	v_add_f64 v[20:21], v[24:25], v[41:42]
	v_add_f64 v[24:25], v[28:29], -v[24:25]
	v_add_f64 v[28:29], v[36:37], -v[41:42]
	v_fma_f64 v[50:51], v[54:55], s[4:5], v[30:31]
	v_add_f64 v[30:31], v[79:80], -v[83:84]
	v_add_f64 v[36:37], v[106:107], -v[81:82]
	v_add_f64 v[41:42], v[73:74], -v[106:107]
	v_fma_f64 v[20:21], v[20:21], -0.5, v[22:23]
	v_add_f64 v[24:25], v[24:25], v[28:29]
	v_add_f64 v[28:29], v[73:74], -v[77:78]
	s_delay_alu instid0(VALU_DEP_3) | instskip(SKIP_1) | instid1(VALU_DEP_3)
	v_fma_f64 v[22:23], v[26:27], s[14:15], v[20:21]
	v_fma_f64 v[20:21], v[26:27], s[2:3], v[20:21]
	v_add_f64 v[36:37], v[28:29], v[36:37]
	s_delay_alu instid0(VALU_DEP_3) | instskip(NEXT) | instid1(VALU_DEP_3)
	v_fma_f64 v[22:23], v[38:39], s[8:9], v[22:23]
	v_fma_f64 v[20:21], v[38:39], s[10:11], v[20:21]
	v_add_f64 v[38:39], v[81:82], -v[106:107]
	s_delay_alu instid0(VALU_DEP_3) | instskip(NEXT) | instid1(VALU_DEP_3)
	v_fma_f64 v[58:59], v[24:25], s[4:5], v[22:23]
	v_fma_f64 v[54:55], v[24:25], s[4:5], v[20:21]
	v_add_f64 v[20:21], v[32:33], v[73:74]
	v_add_f64 v[22:23], v[75:76], -v[108:109]
	s_waitcnt vmcnt(0)
	ds_store_b128 v0, v[44:47]
	ds_store_b128 v0, v[48:51] offset:400
	ds_store_b128 v0, v[56:59] offset:800
	;; [unrolled: 1-line block ×4, first 2 shown]
	scratch_load_b32 v0, off, off offset:468 ; 4-byte Folded Reload
	v_add_f64 v[20:21], v[20:21], v[77:78]
	s_delay_alu instid0(VALU_DEP_1) | instskip(NEXT) | instid1(VALU_DEP_1)
	v_add_f64 v[20:21], v[20:21], v[81:82]
	v_add_f64 v[24:25], v[20:21], v[106:107]
	v_add_f64 v[20:21], v[77:78], v[81:82]
	s_delay_alu instid0(VALU_DEP_1) | instskip(NEXT) | instid1(VALU_DEP_1)
	v_fma_f64 v[20:21], v[20:21], -0.5, v[32:33]
	v_fma_f64 v[26:27], v[22:23], s[14:15], v[20:21]
	v_fma_f64 v[20:21], v[22:23], s[2:3], v[20:21]
	s_delay_alu instid0(VALU_DEP_2) | instskip(NEXT) | instid1(VALU_DEP_2)
	v_fma_f64 v[26:27], v[30:31], s[10:11], v[26:27]
	v_fma_f64 v[20:21], v[30:31], s[8:9], v[20:21]
	s_delay_alu instid0(VALU_DEP_2) | instskip(SKIP_1) | instid1(VALU_DEP_3)
	v_fma_f64 v[28:29], v[36:37], s[4:5], v[26:27]
	v_add_f64 v[26:27], v[73:74], v[106:107]
	v_fma_f64 v[20:21], v[36:37], s[4:5], v[20:21]
	v_add_f64 v[36:37], v[77:78], -v[73:74]
	s_delay_alu instid0(VALU_DEP_3) | instskip(NEXT) | instid1(VALU_DEP_2)
	v_fma_f64 v[26:27], v[26:27], -0.5, v[32:33]
	v_add_f64 v[38:39], v[36:37], v[38:39]
	s_delay_alu instid0(VALU_DEP_2) | instskip(SKIP_1) | instid1(VALU_DEP_2)
	v_fma_f64 v[32:33], v[30:31], s[2:3], v[26:27]
	v_fma_f64 v[26:27], v[30:31], s[14:15], v[26:27]
	;; [unrolled: 1-line block ×3, first 2 shown]
	s_delay_alu instid0(VALU_DEP_2) | instskip(NEXT) | instid1(VALU_DEP_2)
	v_fma_f64 v[22:23], v[22:23], s[8:9], v[26:27]
	v_fma_f64 v[36:37], v[38:39], s[4:5], v[32:33]
	s_delay_alu instid0(VALU_DEP_2) | instskip(SKIP_2) | instid1(VALU_DEP_2)
	v_fma_f64 v[32:33], v[38:39], s[4:5], v[22:23]
	v_add_f64 v[22:23], v[34:35], v[75:76]
	v_add_f64 v[38:39], v[75:76], -v[79:80]
	v_add_f64 v[22:23], v[22:23], v[79:80]
	s_delay_alu instid0(VALU_DEP_2) | instskip(SKIP_1) | instid1(VALU_DEP_3)
	v_add_f64 v[38:39], v[38:39], v[66:67]
	v_add_f64 v[66:67], v[79:80], -v[75:76]
	v_add_f64 v[22:23], v[22:23], v[83:84]
	s_delay_alu instid0(VALU_DEP_2) | instskip(NEXT) | instid1(VALU_DEP_2)
	v_add_f64 v[66:67], v[66:67], v[68:69]
	v_add_f64 v[26:27], v[22:23], v[108:109]
	;; [unrolled: 1-line block ×3, first 2 shown]
	s_delay_alu instid0(VALU_DEP_1) | instskip(NEXT) | instid1(VALU_DEP_1)
	v_fma_f64 v[22:23], v[22:23], -0.5, v[34:35]
	v_fma_f64 v[30:31], v[41:42], s[2:3], v[22:23]
	v_fma_f64 v[22:23], v[41:42], s[14:15], v[22:23]
	s_delay_alu instid0(VALU_DEP_2) | instskip(NEXT) | instid1(VALU_DEP_2)
	v_fma_f64 v[30:31], v[64:65], s[8:9], v[30:31]
	v_fma_f64 v[22:23], v[64:65], s[10:11], v[22:23]
	s_delay_alu instid0(VALU_DEP_2) | instskip(NEXT) | instid1(VALU_DEP_2)
	v_fma_f64 v[30:31], v[38:39], s[4:5], v[30:31]
	v_fma_f64 v[22:23], v[38:39], s[4:5], v[22:23]
	v_add_f64 v[38:39], v[75:76], v[108:109]
	s_delay_alu instid0(VALU_DEP_1) | instskip(NEXT) | instid1(VALU_DEP_1)
	v_fma_f64 v[34:35], v[38:39], -0.5, v[34:35]
	v_fma_f64 v[38:39], v[64:65], s[14:15], v[34:35]
	v_fma_f64 v[34:35], v[64:65], s[2:3], v[34:35]
	s_mov_b32 s2, 0xe70b7421
	s_mov_b32 s3, 0x3f336b06
	s_delay_alu instid0(VALU_DEP_2) | instskip(NEXT) | instid1(VALU_DEP_2)
	v_fma_f64 v[38:39], v[41:42], s[8:9], v[38:39]
	v_fma_f64 v[34:35], v[41:42], s[10:11], v[34:35]
	s_delay_alu instid0(VALU_DEP_2) | instskip(NEXT) | instid1(VALU_DEP_2)
	v_fma_f64 v[38:39], v[66:67], s[4:5], v[38:39]
	v_fma_f64 v[34:35], v[66:67], s[4:5], v[34:35]
	s_waitcnt vmcnt(0)
	ds_store_b128 v0, v[24:27]
	ds_store_b128 v0, v[28:31] offset:400
	ds_store_b128 v0, v[36:39] offset:800
	;; [unrolled: 1-line block ×4, first 2 shown]
	s_waitcnt lgkmcnt(0)
	s_barrier
	buffer_gl0_inv
	ds_load_b128 v[0:3], v40
	ds_load_b128 v[4:7], v40 offset:18000
	ds_load_b128 v[8:11], v40 offset:36000
	;; [unrolled: 1-line block ×14, first 2 shown]
	s_waitcnt lgkmcnt(0)
	s_barrier
	buffer_gl0_inv
	s_mul_i32 s4, s1, 0x2a30
	s_mul_hi_u32 s5, s0, 0x2a30
	v_mul_f64 v[61:62], v[142:143], v[6:7]
	s_add_i32 s4, s5, s4
	s_mul_i32 s5, s0, 0x2a30
	s_delay_alu instid0(VALU_DEP_1) | instskip(SKIP_1) | instid1(VALU_DEP_1)
	v_fma_f64 v[61:62], v[140:141], v[4:5], v[61:62]
	v_mul_f64 v[4:5], v[142:143], v[4:5]
	v_fma_f64 v[63:64], v[140:141], v[6:7], -v[4:5]
	v_mul_f64 v[4:5], v[134:135], v[10:11]
	s_delay_alu instid0(VALU_DEP_1) | instskip(SKIP_1) | instid1(VALU_DEP_2)
	v_fma_f64 v[65:66], v[132:133], v[8:9], v[4:5]
	v_mul_f64 v[4:5], v[134:135], v[8:9]
	v_add_f64 v[6:7], v[61:62], v[65:66]
	s_delay_alu instid0(VALU_DEP_2) | instskip(SKIP_1) | instid1(VALU_DEP_3)
	v_fma_f64 v[10:11], v[132:133], v[10:11], -v[4:5]
	v_mul_f64 v[4:5], v[170:171], v[18:19]
	v_fma_f64 v[6:7], v[6:7], -0.5, v[0:1]
	s_delay_alu instid0(VALU_DEP_3) | instskip(NEXT) | instid1(VALU_DEP_3)
	v_add_f64 v[8:9], v[63:64], -v[10:11]
	v_fma_f64 v[67:68], v[168:169], v[16:17], v[4:5]
	v_mul_f64 v[4:5], v[170:171], v[16:17]
	v_add_f64 v[16:17], v[61:62], -v[65:66]
	s_delay_alu instid0(VALU_DEP_2) | instskip(SKIP_1) | instid1(VALU_DEP_1)
	v_fma_f64 v[69:70], v[168:169], v[18:19], -v[4:5]
	v_mul_f64 v[4:5], v[166:167], v[22:23]
	v_fma_f64 v[71:72], v[164:165], v[20:21], v[4:5]
	v_mul_f64 v[4:5], v[166:167], v[20:21]
	s_delay_alu instid0(VALU_DEP_2) | instskip(NEXT) | instid1(VALU_DEP_2)
	v_add_f64 v[18:19], v[67:68], v[71:72]
	v_fma_f64 v[22:23], v[164:165], v[22:23], -v[4:5]
	v_mul_f64 v[4:5], v[178:179], v[30:31]
	s_delay_alu instid0(VALU_DEP_3) | instskip(NEXT) | instid1(VALU_DEP_3)
	v_fma_f64 v[18:19], v[18:19], -0.5, v[12:13]
	v_add_f64 v[20:21], v[69:70], -v[22:23]
	s_delay_alu instid0(VALU_DEP_3) | instskip(SKIP_2) | instid1(VALU_DEP_2)
	v_fma_f64 v[73:74], v[176:177], v[28:29], v[4:5]
	v_mul_f64 v[4:5], v[178:179], v[28:29]
	v_add_f64 v[28:29], v[67:68], -v[71:72]
	v_fma_f64 v[75:76], v[176:177], v[30:31], -v[4:5]
	v_mul_f64 v[4:5], v[174:175], v[34:35]
	s_delay_alu instid0(VALU_DEP_1) | instskip(SKIP_1) | instid1(VALU_DEP_2)
	v_fma_f64 v[77:78], v[172:173], v[32:33], v[4:5]
	v_mul_f64 v[4:5], v[174:175], v[32:33]
	v_add_f64 v[30:31], v[73:74], v[77:78]
	s_delay_alu instid0(VALU_DEP_2) | instskip(SKIP_1) | instid1(VALU_DEP_3)
	v_fma_f64 v[34:35], v[172:173], v[34:35], -v[4:5]
	v_mul_f64 v[4:5], v[186:187], v[43:44]
	v_fma_f64 v[30:31], v[30:31], -0.5, v[24:25]
	s_delay_alu instid0(VALU_DEP_3) | instskip(NEXT) | instid1(VALU_DEP_3)
	v_add_f64 v[32:33], v[75:76], -v[34:35]
	v_fma_f64 v[79:80], v[184:185], v[41:42], v[4:5]
	v_mul_f64 v[4:5], v[186:187], v[41:42]
	v_add_f64 v[41:42], v[73:74], -v[77:78]
	s_delay_alu instid0(VALU_DEP_2) | instskip(SKIP_1) | instid1(VALU_DEP_1)
	v_fma_f64 v[81:82], v[184:185], v[43:44], -v[4:5]
	v_mul_f64 v[4:5], v[182:183], v[47:48]
	v_fma_f64 v[83:84], v[180:181], v[45:46], v[4:5]
	v_mul_f64 v[4:5], v[182:183], v[45:46]
	s_delay_alu instid0(VALU_DEP_2) | instskip(NEXT) | instid1(VALU_DEP_2)
	v_add_f64 v[43:44], v[79:80], v[83:84]
	v_fma_f64 v[47:48], v[180:181], v[47:48], -v[4:5]
	v_mul_f64 v[4:5], v[198:199], v[55:56]
	s_delay_alu instid0(VALU_DEP_3) | instskip(NEXT) | instid1(VALU_DEP_3)
	v_fma_f64 v[43:44], v[43:44], -0.5, v[36:37]
	v_add_f64 v[45:46], v[81:82], -v[47:48]
	s_delay_alu instid0(VALU_DEP_3) | instskip(SKIP_2) | instid1(VALU_DEP_2)
	v_fma_f64 v[105:106], v[196:197], v[53:54], v[4:5]
	v_mul_f64 v[4:5], v[198:199], v[53:54]
	v_add_f64 v[53:54], v[79:80], -v[83:84]
	v_fma_f64 v[107:108], v[196:197], v[55:56], -v[4:5]
	v_mul_f64 v[4:5], v[190:191], v[59:60]
	s_delay_alu instid0(VALU_DEP_1) | instskip(SKIP_1) | instid1(VALU_DEP_2)
	v_fma_f64 v[109:110], v[188:189], v[57:58], v[4:5]
	v_mul_f64 v[4:5], v[190:191], v[57:58]
	v_add_f64 v[55:56], v[105:106], v[109:110]
	s_delay_alu instid0(VALU_DEP_2)
	v_fma_f64 v[59:60], v[188:189], v[59:60], -v[4:5]
	v_add_f64 v[4:5], v[0:1], v[61:62]
	v_fma_f64 v[0:1], v[8:9], s[18:19], v[6:7]
	v_fma_f64 v[8:9], v[8:9], s[16:17], v[6:7]
	v_add_f64 v[6:7], v[2:3], v[63:64]
	v_add_f64 v[61:62], v[105:106], -v[109:110]
	v_fma_f64 v[55:56], v[55:56], -0.5, v[49:50]
	v_add_f64 v[57:58], v[107:108], -v[59:60]
	v_add_f64 v[4:5], v[4:5], v[65:66]
	v_add_f64 v[6:7], v[6:7], v[10:11]
	v_add_f64 v[10:11], v[63:64], v[10:11]
	s_delay_alu instid0(VALU_DEP_1) | instskip(NEXT) | instid1(VALU_DEP_1)
	v_fma_f64 v[10:11], v[10:11], -0.5, v[2:3]
	v_fma_f64 v[2:3], v[16:17], s[16:17], v[10:11]
	v_fma_f64 v[10:11], v[16:17], s[18:19], v[10:11]
	v_add_f64 v[16:17], v[12:13], v[67:68]
	v_fma_f64 v[12:13], v[20:21], s[18:19], v[18:19]
	v_fma_f64 v[20:21], v[20:21], s[16:17], v[18:19]
	v_add_f64 v[18:19], v[14:15], v[69:70]
	s_delay_alu instid0(VALU_DEP_4) | instskip(NEXT) | instid1(VALU_DEP_2)
	v_add_f64 v[16:17], v[16:17], v[71:72]
	v_add_f64 v[18:19], v[18:19], v[22:23]
	v_add_f64 v[22:23], v[69:70], v[22:23]
	s_delay_alu instid0(VALU_DEP_1) | instskip(NEXT) | instid1(VALU_DEP_1)
	v_fma_f64 v[22:23], v[22:23], -0.5, v[14:15]
	v_fma_f64 v[14:15], v[28:29], s[16:17], v[22:23]
	v_fma_f64 v[22:23], v[28:29], s[18:19], v[22:23]
	v_add_f64 v[28:29], v[24:25], v[73:74]
	v_fma_f64 v[24:25], v[32:33], s[18:19], v[30:31]
	v_fma_f64 v[32:33], v[32:33], s[16:17], v[30:31]
	v_add_f64 v[30:31], v[26:27], v[75:76]
	s_delay_alu instid0(VALU_DEP_4) | instskip(NEXT) | instid1(VALU_DEP_2)
	v_add_f64 v[28:29], v[28:29], v[77:78]
	v_add_f64 v[30:31], v[30:31], v[34:35]
	v_add_f64 v[34:35], v[75:76], v[34:35]
	s_delay_alu instid0(VALU_DEP_1) | instskip(NEXT) | instid1(VALU_DEP_1)
	v_fma_f64 v[34:35], v[34:35], -0.5, v[26:27]
	v_fma_f64 v[26:27], v[41:42], s[16:17], v[34:35]
	v_fma_f64 v[34:35], v[41:42], s[18:19], v[34:35]
	v_add_f64 v[41:42], v[36:37], v[79:80]
	v_fma_f64 v[36:37], v[45:46], s[18:19], v[43:44]
	v_fma_f64 v[45:46], v[45:46], s[16:17], v[43:44]
	v_add_f64 v[43:44], v[38:39], v[81:82]
	s_delay_alu instid0(VALU_DEP_4) | instskip(NEXT) | instid1(VALU_DEP_2)
	v_add_f64 v[41:42], v[41:42], v[83:84]
	v_add_f64 v[43:44], v[43:44], v[47:48]
	v_add_f64 v[47:48], v[81:82], v[47:48]
	s_delay_alu instid0(VALU_DEP_1) | instskip(NEXT) | instid1(VALU_DEP_1)
	v_fma_f64 v[47:48], v[47:48], -0.5, v[38:39]
	v_fma_f64 v[38:39], v[53:54], s[16:17], v[47:48]
	v_fma_f64 v[47:48], v[53:54], s[18:19], v[47:48]
	v_add_f64 v[53:54], v[49:50], v[105:106]
	v_fma_f64 v[49:50], v[57:58], s[18:19], v[55:56]
	v_fma_f64 v[57:58], v[57:58], s[16:17], v[55:56]
	v_add_f64 v[55:56], v[51:52], v[107:108]
	s_delay_alu instid0(VALU_DEP_4) | instskip(NEXT) | instid1(VALU_DEP_2)
	v_add_f64 v[53:54], v[53:54], v[109:110]
	v_add_f64 v[55:56], v[55:56], v[59:60]
	;; [unrolled: 1-line block ×3, first 2 shown]
	s_delay_alu instid0(VALU_DEP_1) | instskip(NEXT) | instid1(VALU_DEP_1)
	v_fma_f64 v[59:60], v[59:60], -0.5, v[51:52]
	v_fma_f64 v[51:52], v[61:62], s[16:17], v[59:60]
	v_fma_f64 v[59:60], v[61:62], s[18:19], v[59:60]
	scratch_load_b32 v61, off, off offset:492 ; 4-byte Folded Reload
	s_waitcnt vmcnt(0)
	ds_store_b128 v61, v[4:7]
	ds_store_b128 v61, v[0:3] offset:2000
	ds_store_b128 v61, v[8:11] offset:4000
	scratch_load_b32 v0, off, off offset:488 ; 4-byte Folded Reload
	s_waitcnt vmcnt(0)
	ds_store_b128 v0, v[16:19]
	ds_store_b128 v0, v[12:15] offset:2000
	ds_store_b128 v0, v[20:23] offset:4000
	;; [unrolled: 5-line block ×5, first 2 shown]
	s_waitcnt lgkmcnt(0)
	s_barrier
	buffer_gl0_inv
	ds_load_b128 v[0:3], v40
	ds_load_b128 v[4:7], v40 offset:18000
	ds_load_b128 v[8:11], v40 offset:36000
	;; [unrolled: 1-line block ×14, first 2 shown]
	s_waitcnt lgkmcnt(0)
	s_barrier
	buffer_gl0_inv
	v_mul_f64 v[61:62], v[202:203], v[6:7]
	s_delay_alu instid0(VALU_DEP_1) | instskip(SKIP_1) | instid1(VALU_DEP_1)
	v_fma_f64 v[61:62], v[200:201], v[4:5], v[61:62]
	v_mul_f64 v[4:5], v[202:203], v[4:5]
	v_fma_f64 v[63:64], v[200:201], v[6:7], -v[4:5]
	v_mul_f64 v[4:5], v[194:195], v[10:11]
	s_delay_alu instid0(VALU_DEP_1) | instskip(SKIP_1) | instid1(VALU_DEP_2)
	v_fma_f64 v[65:66], v[192:193], v[8:9], v[4:5]
	v_mul_f64 v[4:5], v[194:195], v[8:9]
	v_add_f64 v[6:7], v[61:62], v[65:66]
	s_delay_alu instid0(VALU_DEP_2) | instskip(SKIP_1) | instid1(VALU_DEP_3)
	v_fma_f64 v[10:11], v[192:193], v[10:11], -v[4:5]
	v_mul_f64 v[4:5], v[210:211], v[18:19]
	v_fma_f64 v[6:7], v[6:7], -0.5, v[0:1]
	s_delay_alu instid0(VALU_DEP_3) | instskip(NEXT) | instid1(VALU_DEP_3)
	v_add_f64 v[8:9], v[63:64], -v[10:11]
	v_fma_f64 v[67:68], v[208:209], v[16:17], v[4:5]
	v_mul_f64 v[4:5], v[210:211], v[16:17]
	v_add_f64 v[16:17], v[61:62], -v[65:66]
	s_delay_alu instid0(VALU_DEP_2) | instskip(SKIP_1) | instid1(VALU_DEP_1)
	v_fma_f64 v[69:70], v[208:209], v[18:19], -v[4:5]
	v_mul_f64 v[4:5], v[206:207], v[22:23]
	v_fma_f64 v[71:72], v[204:205], v[20:21], v[4:5]
	v_mul_f64 v[4:5], v[206:207], v[20:21]
	s_delay_alu instid0(VALU_DEP_2) | instskip(NEXT) | instid1(VALU_DEP_2)
	v_add_f64 v[18:19], v[67:68], v[71:72]
	v_fma_f64 v[22:23], v[204:205], v[22:23], -v[4:5]
	v_mul_f64 v[4:5], v[218:219], v[30:31]
	s_delay_alu instid0(VALU_DEP_3) | instskip(NEXT) | instid1(VALU_DEP_3)
	v_fma_f64 v[18:19], v[18:19], -0.5, v[12:13]
	v_add_f64 v[20:21], v[69:70], -v[22:23]
	s_delay_alu instid0(VALU_DEP_3) | instskip(SKIP_2) | instid1(VALU_DEP_2)
	v_fma_f64 v[73:74], v[216:217], v[28:29], v[4:5]
	v_mul_f64 v[4:5], v[218:219], v[28:29]
	v_add_f64 v[28:29], v[67:68], -v[71:72]
	v_fma_f64 v[75:76], v[216:217], v[30:31], -v[4:5]
	v_mul_f64 v[4:5], v[214:215], v[34:35]
	s_delay_alu instid0(VALU_DEP_1) | instskip(SKIP_1) | instid1(VALU_DEP_2)
	v_fma_f64 v[77:78], v[212:213], v[32:33], v[4:5]
	v_mul_f64 v[4:5], v[214:215], v[32:33]
	v_add_f64 v[30:31], v[73:74], v[77:78]
	s_delay_alu instid0(VALU_DEP_2) | instskip(SKIP_1) | instid1(VALU_DEP_3)
	v_fma_f64 v[34:35], v[212:213], v[34:35], -v[4:5]
	v_mul_f64 v[4:5], v[230:231], v[43:44]
	v_fma_f64 v[30:31], v[30:31], -0.5, v[24:25]
	s_delay_alu instid0(VALU_DEP_3) | instskip(NEXT) | instid1(VALU_DEP_3)
	v_add_f64 v[32:33], v[75:76], -v[34:35]
	v_fma_f64 v[79:80], v[228:229], v[41:42], v[4:5]
	v_mul_f64 v[4:5], v[230:231], v[41:42]
	v_add_f64 v[41:42], v[73:74], -v[77:78]
	s_delay_alu instid0(VALU_DEP_2) | instskip(SKIP_1) | instid1(VALU_DEP_1)
	v_fma_f64 v[81:82], v[228:229], v[43:44], -v[4:5]
	v_mul_f64 v[4:5], v[222:223], v[47:48]
	v_fma_f64 v[83:84], v[220:221], v[45:46], v[4:5]
	v_mul_f64 v[4:5], v[222:223], v[45:46]
	s_delay_alu instid0(VALU_DEP_2) | instskip(NEXT) | instid1(VALU_DEP_2)
	v_add_f64 v[43:44], v[79:80], v[83:84]
	v_fma_f64 v[47:48], v[220:221], v[47:48], -v[4:5]
	v_mul_f64 v[4:5], v[250:251], v[55:56]
	s_delay_alu instid0(VALU_DEP_3) | instskip(NEXT) | instid1(VALU_DEP_3)
	v_fma_f64 v[43:44], v[43:44], -0.5, v[36:37]
	v_add_f64 v[45:46], v[81:82], -v[47:48]
	s_delay_alu instid0(VALU_DEP_3) | instskip(SKIP_2) | instid1(VALU_DEP_2)
	v_fma_f64 v[105:106], v[248:249], v[53:54], v[4:5]
	v_mul_f64 v[4:5], v[250:251], v[53:54]
	v_add_f64 v[53:54], v[79:80], -v[83:84]
	v_fma_f64 v[107:108], v[248:249], v[55:56], -v[4:5]
	v_mul_f64 v[4:5], v[238:239], v[59:60]
	s_delay_alu instid0(VALU_DEP_1) | instskip(SKIP_1) | instid1(VALU_DEP_2)
	v_fma_f64 v[109:110], v[236:237], v[57:58], v[4:5]
	v_mul_f64 v[4:5], v[238:239], v[57:58]
	v_add_f64 v[55:56], v[105:106], v[109:110]
	s_delay_alu instid0(VALU_DEP_2)
	v_fma_f64 v[59:60], v[236:237], v[59:60], -v[4:5]
	v_add_f64 v[4:5], v[0:1], v[61:62]
	v_fma_f64 v[0:1], v[8:9], s[18:19], v[6:7]
	v_fma_f64 v[8:9], v[8:9], s[16:17], v[6:7]
	v_add_f64 v[6:7], v[2:3], v[63:64]
	v_add_f64 v[61:62], v[105:106], -v[109:110]
	v_fma_f64 v[55:56], v[55:56], -0.5, v[49:50]
	v_add_f64 v[57:58], v[107:108], -v[59:60]
	v_add_f64 v[4:5], v[4:5], v[65:66]
	v_add_f64 v[6:7], v[6:7], v[10:11]
	;; [unrolled: 1-line block ×3, first 2 shown]
	s_delay_alu instid0(VALU_DEP_1) | instskip(NEXT) | instid1(VALU_DEP_1)
	v_fma_f64 v[10:11], v[10:11], -0.5, v[2:3]
	v_fma_f64 v[2:3], v[16:17], s[16:17], v[10:11]
	v_fma_f64 v[10:11], v[16:17], s[18:19], v[10:11]
	ds_store_b128 v40, v[4:7]
	ds_store_b128 v40, v[0:3] offset:6000
	ds_store_b128 v40, v[8:11] offset:12000
	scratch_load_b32 v0, off, off offset:504 ; 4-byte Folded Reload
	v_add_f64 v[16:17], v[12:13], v[67:68]
	v_fma_f64 v[12:13], v[20:21], s[18:19], v[18:19]
	v_fma_f64 v[20:21], v[20:21], s[16:17], v[18:19]
	v_add_f64 v[18:19], v[14:15], v[69:70]
	s_delay_alu instid0(VALU_DEP_4) | instskip(NEXT) | instid1(VALU_DEP_2)
	v_add_f64 v[16:17], v[16:17], v[71:72]
	v_add_f64 v[18:19], v[18:19], v[22:23]
	;; [unrolled: 1-line block ×3, first 2 shown]
	s_delay_alu instid0(VALU_DEP_1) | instskip(NEXT) | instid1(VALU_DEP_1)
	v_fma_f64 v[22:23], v[22:23], -0.5, v[14:15]
	v_fma_f64 v[14:15], v[28:29], s[16:17], v[22:23]
	v_fma_f64 v[22:23], v[28:29], s[18:19], v[22:23]
	v_add_f64 v[28:29], v[24:25], v[73:74]
	v_fma_f64 v[24:25], v[32:33], s[18:19], v[30:31]
	v_fma_f64 v[32:33], v[32:33], s[16:17], v[30:31]
	v_add_f64 v[30:31], v[26:27], v[75:76]
	s_delay_alu instid0(VALU_DEP_4) | instskip(NEXT) | instid1(VALU_DEP_2)
	v_add_f64 v[28:29], v[28:29], v[77:78]
	v_add_f64 v[30:31], v[30:31], v[34:35]
	;; [unrolled: 1-line block ×3, first 2 shown]
	s_delay_alu instid0(VALU_DEP_1) | instskip(NEXT) | instid1(VALU_DEP_1)
	v_fma_f64 v[34:35], v[34:35], -0.5, v[26:27]
	v_fma_f64 v[26:27], v[41:42], s[16:17], v[34:35]
	v_fma_f64 v[34:35], v[41:42], s[18:19], v[34:35]
	s_waitcnt vmcnt(0)
	ds_store_b128 v0, v[16:19]
	ds_store_b128 v0, v[12:15] offset:6000
	ds_store_b128 v0, v[20:23] offset:12000
	;; [unrolled: 1-line block ×5, first 2 shown]
	scratch_load_b32 v0, off, off offset:500 ; 4-byte Folded Reload
	v_add_f64 v[41:42], v[36:37], v[79:80]
	v_fma_f64 v[36:37], v[45:46], s[18:19], v[43:44]
	v_fma_f64 v[45:46], v[45:46], s[16:17], v[43:44]
	v_add_f64 v[43:44], v[38:39], v[81:82]
	s_delay_alu instid0(VALU_DEP_4) | instskip(NEXT) | instid1(VALU_DEP_2)
	v_add_f64 v[41:42], v[41:42], v[83:84]
	v_add_f64 v[43:44], v[43:44], v[47:48]
	;; [unrolled: 1-line block ×3, first 2 shown]
	s_delay_alu instid0(VALU_DEP_1) | instskip(NEXT) | instid1(VALU_DEP_1)
	v_fma_f64 v[47:48], v[47:48], -0.5, v[38:39]
	v_fma_f64 v[38:39], v[53:54], s[16:17], v[47:48]
	v_fma_f64 v[47:48], v[53:54], s[18:19], v[47:48]
	s_waitcnt vmcnt(0)
	ds_store_b128 v0, v[41:44]
	ds_store_b128 v0, v[36:39] offset:6000
	ds_store_b128 v0, v[45:48] offset:12000
	scratch_load_b32 v0, off, off offset:496 ; 4-byte Folded Reload
	v_add_f64 v[53:54], v[49:50], v[105:106]
	v_fma_f64 v[49:50], v[57:58], s[18:19], v[55:56]
	v_fma_f64 v[57:58], v[57:58], s[16:17], v[55:56]
	v_add_f64 v[55:56], v[51:52], v[107:108]
	s_delay_alu instid0(VALU_DEP_4) | instskip(NEXT) | instid1(VALU_DEP_2)
	v_add_f64 v[53:54], v[53:54], v[109:110]
	v_add_f64 v[55:56], v[55:56], v[59:60]
	;; [unrolled: 1-line block ×3, first 2 shown]
	s_delay_alu instid0(VALU_DEP_1) | instskip(NEXT) | instid1(VALU_DEP_1)
	v_fma_f64 v[59:60], v[59:60], -0.5, v[51:52]
	v_fma_f64 v[51:52], v[61:62], s[16:17], v[59:60]
	v_fma_f64 v[59:60], v[61:62], s[18:19], v[59:60]
	s_waitcnt vmcnt(0)
	ds_store_b128 v0, v[53:56] offset:36000
	ds_store_b128 v0, v[49:52] offset:42000
	;; [unrolled: 1-line block ×3, first 2 shown]
	s_waitcnt lgkmcnt(0)
	s_barrier
	buffer_gl0_inv
	ds_load_b128 v[0:3], v40
	ds_load_b128 v[4:7], v40 offset:18000
	ds_load_b128 v[8:11], v40 offset:36000
	;; [unrolled: 1-line block ×14, first 2 shown]
	s_waitcnt lgkmcnt(13)
	v_mul_f64 v[61:62], v[234:235], v[6:7]
	s_delay_alu instid0(VALU_DEP_1) | instskip(SKIP_1) | instid1(VALU_DEP_1)
	v_fma_f64 v[61:62], v[232:233], v[4:5], v[61:62]
	v_mul_f64 v[4:5], v[234:235], v[4:5]
	v_fma_f64 v[63:64], v[232:233], v[6:7], -v[4:5]
	s_waitcnt lgkmcnt(12)
	v_mul_f64 v[4:5], v[226:227], v[10:11]
	s_delay_alu instid0(VALU_DEP_1) | instskip(SKIP_1) | instid1(VALU_DEP_2)
	v_fma_f64 v[65:66], v[224:225], v[8:9], v[4:5]
	v_mul_f64 v[4:5], v[226:227], v[8:9]
	v_add_f64 v[6:7], v[61:62], v[65:66]
	s_delay_alu instid0(VALU_DEP_2) | instskip(SKIP_2) | instid1(VALU_DEP_3)
	v_fma_f64 v[10:11], v[224:225], v[10:11], -v[4:5]
	s_waitcnt lgkmcnt(10)
	v_mul_f64 v[4:5], v[246:247], v[18:19]
	v_fma_f64 v[6:7], v[6:7], -0.5, v[0:1]
	s_delay_alu instid0(VALU_DEP_3) | instskip(NEXT) | instid1(VALU_DEP_3)
	v_add_f64 v[8:9], v[63:64], -v[10:11]
	v_fma_f64 v[67:68], v[244:245], v[16:17], v[4:5]
	v_mul_f64 v[4:5], v[246:247], v[16:17]
	v_add_f64 v[16:17], v[61:62], -v[65:66]
	s_delay_alu instid0(VALU_DEP_2) | instskip(SKIP_2) | instid1(VALU_DEP_1)
	v_fma_f64 v[69:70], v[244:245], v[18:19], -v[4:5]
	s_waitcnt lgkmcnt(9)
	v_mul_f64 v[4:5], v[242:243], v[22:23]
	v_fma_f64 v[71:72], v[240:241], v[20:21], v[4:5]
	v_mul_f64 v[4:5], v[242:243], v[20:21]
	s_delay_alu instid0(VALU_DEP_2) | instskip(NEXT) | instid1(VALU_DEP_2)
	v_add_f64 v[18:19], v[67:68], v[71:72]
	v_fma_f64 v[22:23], v[240:241], v[22:23], -v[4:5]
	s_waitcnt lgkmcnt(7)
	v_mul_f64 v[4:5], v[103:104], v[30:31]
	s_delay_alu instid0(VALU_DEP_3) | instskip(NEXT) | instid1(VALU_DEP_3)
	v_fma_f64 v[18:19], v[18:19], -0.5, v[12:13]
	v_add_f64 v[20:21], v[69:70], -v[22:23]
	s_delay_alu instid0(VALU_DEP_3) | instskip(SKIP_2) | instid1(VALU_DEP_2)
	v_fma_f64 v[73:74], v[101:102], v[28:29], v[4:5]
	v_mul_f64 v[4:5], v[103:104], v[28:29]
	v_add_f64 v[28:29], v[67:68], -v[71:72]
	v_fma_f64 v[75:76], v[101:102], v[30:31], -v[4:5]
	s_waitcnt lgkmcnt(6)
	v_mul_f64 v[4:5], v[254:255], v[34:35]
	s_delay_alu instid0(VALU_DEP_1) | instskip(SKIP_1) | instid1(VALU_DEP_2)
	v_fma_f64 v[77:78], v[252:253], v[32:33], v[4:5]
	v_mul_f64 v[4:5], v[254:255], v[32:33]
	v_add_f64 v[30:31], v[73:74], v[77:78]
	s_delay_alu instid0(VALU_DEP_2) | instskip(SKIP_2) | instid1(VALU_DEP_3)
	v_fma_f64 v[34:35], v[252:253], v[34:35], -v[4:5]
	s_waitcnt lgkmcnt(4)
	v_mul_f64 v[4:5], v[95:96], v[43:44]
	v_fma_f64 v[30:31], v[30:31], -0.5, v[24:25]
	s_delay_alu instid0(VALU_DEP_3) | instskip(NEXT) | instid1(VALU_DEP_3)
	v_add_f64 v[32:33], v[75:76], -v[34:35]
	v_fma_f64 v[79:80], v[93:94], v[41:42], v[4:5]
	v_mul_f64 v[4:5], v[95:96], v[41:42]
	v_add_f64 v[41:42], v[73:74], -v[77:78]
	s_delay_alu instid0(VALU_DEP_2) | instskip(SKIP_2) | instid1(VALU_DEP_1)
	v_fma_f64 v[81:82], v[93:94], v[43:44], -v[4:5]
	s_waitcnt lgkmcnt(3)
	v_mul_f64 v[4:5], v[99:100], v[47:48]
	v_fma_f64 v[83:84], v[97:98], v[45:46], v[4:5]
	v_mul_f64 v[4:5], v[99:100], v[45:46]
	s_delay_alu instid0(VALU_DEP_2) | instskip(NEXT) | instid1(VALU_DEP_2)
	v_add_f64 v[43:44], v[79:80], v[83:84]
	v_fma_f64 v[47:48], v[97:98], v[47:48], -v[4:5]
	s_waitcnt lgkmcnt(1)
	v_mul_f64 v[4:5], v[87:88], v[55:56]
	s_delay_alu instid0(VALU_DEP_3) | instskip(NEXT) | instid1(VALU_DEP_3)
	v_fma_f64 v[43:44], v[43:44], -0.5, v[36:37]
	v_add_f64 v[45:46], v[81:82], -v[47:48]
	s_delay_alu instid0(VALU_DEP_3) | instskip(SKIP_2) | instid1(VALU_DEP_2)
	v_fma_f64 v[93:94], v[85:86], v[53:54], v[4:5]
	v_mul_f64 v[4:5], v[87:88], v[53:54]
	v_add_f64 v[53:54], v[79:80], -v[83:84]
	v_fma_f64 v[85:86], v[85:86], v[55:56], -v[4:5]
	s_waitcnt lgkmcnt(0)
	v_mul_f64 v[4:5], v[91:92], v[59:60]
	s_delay_alu instid0(VALU_DEP_1) | instskip(SKIP_1) | instid1(VALU_DEP_2)
	v_fma_f64 v[87:88], v[89:90], v[57:58], v[4:5]
	v_mul_f64 v[4:5], v[91:92], v[57:58]
	v_add_f64 v[55:56], v[93:94], v[87:88]
	s_delay_alu instid0(VALU_DEP_2)
	v_fma_f64 v[59:60], v[89:90], v[59:60], -v[4:5]
	v_add_f64 v[4:5], v[0:1], v[61:62]
	v_fma_f64 v[0:1], v[8:9], s[18:19], v[6:7]
	v_fma_f64 v[8:9], v[8:9], s[16:17], v[6:7]
	v_add_f64 v[6:7], v[2:3], v[63:64]
	v_add_f64 v[61:62], v[93:94], -v[87:88]
	v_fma_f64 v[55:56], v[55:56], -0.5, v[49:50]
	v_add_f64 v[57:58], v[85:86], -v[59:60]
	v_add_f64 v[4:5], v[4:5], v[65:66]
	v_add_f64 v[6:7], v[6:7], v[10:11]
	v_add_f64 v[10:11], v[63:64], v[10:11]
	s_delay_alu instid0(VALU_DEP_1) | instskip(NEXT) | instid1(VALU_DEP_1)
	v_fma_f64 v[10:11], v[10:11], -0.5, v[2:3]
	v_fma_f64 v[2:3], v[16:17], s[16:17], v[10:11]
	v_fma_f64 v[10:11], v[16:17], s[18:19], v[10:11]
	v_add_f64 v[16:17], v[12:13], v[67:68]
	v_fma_f64 v[12:13], v[20:21], s[18:19], v[18:19]
	v_fma_f64 v[20:21], v[20:21], s[16:17], v[18:19]
	v_add_f64 v[18:19], v[14:15], v[69:70]
	s_delay_alu instid0(VALU_DEP_4) | instskip(NEXT) | instid1(VALU_DEP_2)
	v_add_f64 v[16:17], v[16:17], v[71:72]
	v_add_f64 v[18:19], v[18:19], v[22:23]
	v_add_f64 v[22:23], v[69:70], v[22:23]
	s_delay_alu instid0(VALU_DEP_1) | instskip(NEXT) | instid1(VALU_DEP_1)
	v_fma_f64 v[22:23], v[22:23], -0.5, v[14:15]
	v_fma_f64 v[14:15], v[28:29], s[16:17], v[22:23]
	v_fma_f64 v[22:23], v[28:29], s[18:19], v[22:23]
	v_add_f64 v[28:29], v[24:25], v[73:74]
	v_fma_f64 v[24:25], v[32:33], s[18:19], v[30:31]
	v_fma_f64 v[32:33], v[32:33], s[16:17], v[30:31]
	v_add_f64 v[30:31], v[26:27], v[75:76]
	s_delay_alu instid0(VALU_DEP_4) | instskip(NEXT) | instid1(VALU_DEP_2)
	;; [unrolled: 12-line block ×4, first 2 shown]
	v_add_f64 v[53:54], v[53:54], v[87:88]
	v_add_f64 v[55:56], v[55:56], v[59:60]
	;; [unrolled: 1-line block ×3, first 2 shown]
	s_delay_alu instid0(VALU_DEP_1) | instskip(NEXT) | instid1(VALU_DEP_1)
	v_fma_f64 v[59:60], v[59:60], -0.5, v[51:52]
	v_fma_f64 v[51:52], v[61:62], s[16:17], v[59:60]
	v_fma_f64 v[59:60], v[61:62], s[18:19], v[59:60]
	ds_store_b128 v40, v[4:7]
	ds_store_b128 v40, v[0:3] offset:18000
	ds_store_b128 v40, v[8:11] offset:36000
	;; [unrolled: 1-line block ×14, first 2 shown]
	s_waitcnt lgkmcnt(0)
	s_barrier
	buffer_gl0_inv
	scratch_load_b128 v[6:9], off, off offset:232 ; 16-byte Folded Reload
	ds_load_b128 v[0:3], v40
	scratch_load_b128 v[10:13], off, off offset:48 ; 16-byte Folded Reload
	s_waitcnt vmcnt(1) lgkmcnt(0)
	v_mul_f64 v[4:5], v[8:9], v[2:3]
	s_delay_alu instid0(VALU_DEP_1) | instskip(SKIP_4) | instid1(VALU_DEP_1)
	v_fma_f64 v[4:5], v[6:7], v[0:1], v[4:5]
	v_mul_f64 v[0:1], v[8:9], v[0:1]
	scratch_load_b32 v8, off, off offset:324 ; 4-byte Folded Reload
	v_mul_f64 v[4:5], v[4:5], s[2:3]
	v_fma_f64 v[0:1], v[6:7], v[2:3], -v[0:1]
	v_mul_f64 v[6:7], v[0:1], s[2:3]
	s_waitcnt vmcnt(0)
	v_mad_u64_u32 v[0:1], null, s0, v8, 0
	s_delay_alu instid0(VALU_DEP_1) | instskip(SKIP_1) | instid1(SALU_CYCLE_1)
	v_mad_u64_u32 v[2:3], null, s1, v8, v[1:2]
	s_mul_i32 s1, s1, 0xffff6550
	s_sub_i32 s1, s1, s0
	s_delay_alu instid0(VALU_DEP_1) | instskip(SKIP_4) | instid1(VALU_DEP_1)
	v_mov_b32_e32 v1, v2
	scratch_load_b64 v[2:3], off, off offset:208 ; 8-byte Folded Reload
	v_lshlrev_b64 v[0:1], 4, v[0:1]
	s_waitcnt vmcnt(0)
	v_lshlrev_b64 v[2:3], 4, v[2:3]
	v_add_co_u32 v2, vcc_lo, s12, v2
	s_delay_alu instid0(VALU_DEP_2) | instskip(NEXT) | instid1(VALU_DEP_2)
	v_add_co_ci_u32_e32 v3, vcc_lo, s13, v3, vcc_lo
	v_add_co_u32 v8, vcc_lo, v2, v0
	s_delay_alu instid0(VALU_DEP_2)
	v_add_co_ci_u32_e32 v9, vcc_lo, v3, v1, vcc_lo
	ds_load_b128 v[0:3], v40 offset:10800
	global_store_b128 v[8:9], v[4:7], off
	v_add_co_u32 v8, vcc_lo, v8, s5
	v_add_co_ci_u32_e32 v9, vcc_lo, s4, v9, vcc_lo
	s_waitcnt lgkmcnt(0)
	v_mul_f64 v[4:5], v[12:13], v[2:3]
	s_delay_alu instid0(VALU_DEP_1) | instskip(SKIP_1) | instid1(VALU_DEP_2)
	v_fma_f64 v[4:5], v[10:11], v[0:1], v[4:5]
	v_mul_f64 v[0:1], v[12:13], v[0:1]
	v_mul_f64 v[4:5], v[4:5], s[2:3]
	s_delay_alu instid0(VALU_DEP_2)
	v_fma_f64 v[0:1], v[10:11], v[2:3], -v[0:1]
	scratch_load_b128 v[10:13], off, off offset:32 ; 16-byte Folded Reload
	v_mul_f64 v[6:7], v[0:1], s[2:3]
	ds_load_b128 v[0:3], v40 offset:21600
	global_store_b128 v[8:9], v[4:7], off
	v_add_co_u32 v8, vcc_lo, v8, s5
	v_add_co_ci_u32_e32 v9, vcc_lo, s4, v9, vcc_lo
	s_waitcnt vmcnt(0) lgkmcnt(0)
	v_mul_f64 v[4:5], v[12:13], v[2:3]
	s_delay_alu instid0(VALU_DEP_1) | instskip(SKIP_1) | instid1(VALU_DEP_2)
	v_fma_f64 v[4:5], v[10:11], v[0:1], v[4:5]
	v_mul_f64 v[0:1], v[12:13], v[0:1]
	v_mul_f64 v[4:5], v[4:5], s[2:3]
	s_delay_alu instid0(VALU_DEP_2)
	v_fma_f64 v[0:1], v[10:11], v[2:3], -v[0:1]
	scratch_load_b128 v[10:13], off, off offset:16 ; 16-byte Folded Reload
	v_mul_f64 v[6:7], v[0:1], s[2:3]
	ds_load_b128 v[0:3], v40 offset:32400
	global_store_b128 v[8:9], v[4:7], off
	v_add_co_u32 v8, vcc_lo, v8, s5
	v_add_co_ci_u32_e32 v9, vcc_lo, s4, v9, vcc_lo
	s_waitcnt vmcnt(0) lgkmcnt(0)
	v_mul_f64 v[4:5], v[12:13], v[2:3]
	s_delay_alu instid0(VALU_DEP_1) | instskip(SKIP_1) | instid1(VALU_DEP_2)
	v_fma_f64 v[4:5], v[10:11], v[0:1], v[4:5]
	v_mul_f64 v[0:1], v[12:13], v[0:1]
	v_mul_f64 v[4:5], v[4:5], s[2:3]
	s_delay_alu instid0(VALU_DEP_2)
	v_fma_f64 v[0:1], v[10:11], v[2:3], -v[0:1]
	scratch_load_b128 v[10:13], off, off    ; 16-byte Folded Reload
	v_mul_f64 v[6:7], v[0:1], s[2:3]
	ds_load_b128 v[0:3], v40 offset:43200
	global_store_b128 v[8:9], v[4:7], off
	v_add_co_u32 v8, vcc_lo, v8, s5
	v_add_co_ci_u32_e32 v9, vcc_lo, s4, v9, vcc_lo
	s_waitcnt vmcnt(0) lgkmcnt(0)
	v_mul_f64 v[4:5], v[12:13], v[2:3]
	s_delay_alu instid0(VALU_DEP_1) | instskip(SKIP_1) | instid1(VALU_DEP_2)
	v_fma_f64 v[4:5], v[10:11], v[0:1], v[4:5]
	v_mul_f64 v[0:1], v[12:13], v[0:1]
	v_mul_f64 v[4:5], v[4:5], s[2:3]
	s_delay_alu instid0(VALU_DEP_2)
	v_fma_f64 v[0:1], v[10:11], v[2:3], -v[0:1]
	scratch_load_b128 v[10:13], off, off offset:80 ; 16-byte Folded Reload
	v_mul_f64 v[6:7], v[0:1], s[2:3]
	ds_load_b128 v[0:3], v40 offset:3600
	global_store_b128 v[8:9], v[4:7], off
	s_waitcnt vmcnt(0) lgkmcnt(0)
	v_mul_f64 v[4:5], v[12:13], v[2:3]
	s_delay_alu instid0(VALU_DEP_1) | instskip(SKIP_1) | instid1(VALU_DEP_2)
	v_fma_f64 v[4:5], v[10:11], v[0:1], v[4:5]
	v_mul_f64 v[0:1], v[12:13], v[0:1]
	v_mul_f64 v[4:5], v[4:5], s[2:3]
	s_delay_alu instid0(VALU_DEP_2) | instskip(SKIP_1) | instid1(VALU_DEP_1)
	v_fma_f64 v[0:1], v[10:11], v[2:3], -v[0:1]
	v_mad_u64_u32 v[10:11], null, 0xffff6550, s0, v[8:9]
	v_add_nc_u32_e32 v11, s1, v11
	s_delay_alu instid0(VALU_DEP_3)
	v_mul_f64 v[6:7], v[0:1], s[2:3]
	ds_load_b128 v[0:3], v40 offset:14400
	global_store_b128 v[10:11], v[4:7], off
	scratch_load_b128 v[6:9], off, off offset:64 ; 16-byte Folded Reload
	s_waitcnt vmcnt(0) lgkmcnt(0)
	v_mul_f64 v[4:5], v[8:9], v[2:3]
	s_delay_alu instid0(VALU_DEP_1)
	v_fma_f64 v[4:5], v[6:7], v[0:1], v[4:5]
	v_mul_f64 v[0:1], v[8:9], v[0:1]
	v_add_co_u32 v8, vcc_lo, v10, s5
	v_add_co_ci_u32_e32 v9, vcc_lo, s4, v11, vcc_lo
	scratch_load_b128 v[10:13], off, off offset:96 ; 16-byte Folded Reload
	v_mul_f64 v[4:5], v[4:5], s[2:3]
	v_fma_f64 v[0:1], v[6:7], v[2:3], -v[0:1]
	s_delay_alu instid0(VALU_DEP_1)
	v_mul_f64 v[6:7], v[0:1], s[2:3]
	ds_load_b128 v[0:3], v40 offset:25200
	global_store_b128 v[8:9], v[4:7], off
	v_add_co_u32 v8, vcc_lo, v8, s5
	v_add_co_ci_u32_e32 v9, vcc_lo, s4, v9, vcc_lo
	s_waitcnt vmcnt(0) lgkmcnt(0)
	v_mul_f64 v[4:5], v[12:13], v[2:3]
	s_delay_alu instid0(VALU_DEP_1) | instskip(SKIP_1) | instid1(VALU_DEP_2)
	v_fma_f64 v[4:5], v[10:11], v[0:1], v[4:5]
	v_mul_f64 v[0:1], v[12:13], v[0:1]
	v_mul_f64 v[4:5], v[4:5], s[2:3]
	s_delay_alu instid0(VALU_DEP_2)
	v_fma_f64 v[0:1], v[10:11], v[2:3], -v[0:1]
	scratch_load_b128 v[10:13], off, off offset:112 ; 16-byte Folded Reload
	v_mul_f64 v[6:7], v[0:1], s[2:3]
	ds_load_b128 v[0:3], v40 offset:36000
	global_store_b128 v[8:9], v[4:7], off
	v_add_co_u32 v8, vcc_lo, v8, s5
	v_add_co_ci_u32_e32 v9, vcc_lo, s4, v9, vcc_lo
	s_waitcnt vmcnt(0) lgkmcnt(0)
	v_mul_f64 v[4:5], v[12:13], v[2:3]
	s_delay_alu instid0(VALU_DEP_1) | instskip(SKIP_1) | instid1(VALU_DEP_2)
	v_fma_f64 v[4:5], v[10:11], v[0:1], v[4:5]
	v_mul_f64 v[0:1], v[12:13], v[0:1]
	v_mul_f64 v[4:5], v[4:5], s[2:3]
	s_delay_alu instid0(VALU_DEP_2)
	v_fma_f64 v[0:1], v[10:11], v[2:3], -v[0:1]
	scratch_load_b128 v[10:13], off, off offset:128 ; 16-byte Folded Reload
	;; [unrolled: 14-line block ×3, first 2 shown]
	v_mul_f64 v[6:7], v[0:1], s[2:3]
	ds_load_b128 v[0:3], v40 offset:7200
	global_store_b128 v[8:9], v[4:7], off
	s_waitcnt vmcnt(0) lgkmcnt(0)
	v_mul_f64 v[4:5], v[12:13], v[2:3]
	s_delay_alu instid0(VALU_DEP_1) | instskip(SKIP_1) | instid1(VALU_DEP_2)
	v_fma_f64 v[4:5], v[10:11], v[0:1], v[4:5]
	v_mul_f64 v[0:1], v[12:13], v[0:1]
	v_mul_f64 v[4:5], v[4:5], s[2:3]
	s_delay_alu instid0(VALU_DEP_2) | instskip(SKIP_1) | instid1(VALU_DEP_1)
	v_fma_f64 v[0:1], v[10:11], v[2:3], -v[0:1]
	v_mad_u64_u32 v[10:11], null, 0xffff6550, s0, v[8:9]
	v_add_nc_u32_e32 v11, s1, v11
	s_delay_alu instid0(VALU_DEP_3)
	v_mul_f64 v[6:7], v[0:1], s[2:3]
	ds_load_b128 v[0:3], v40 offset:18000
	global_store_b128 v[10:11], v[4:7], off
	scratch_load_b128 v[6:9], off, off offset:176 ; 16-byte Folded Reload
	s_waitcnt vmcnt(0) lgkmcnt(0)
	v_mul_f64 v[4:5], v[8:9], v[2:3]
	s_delay_alu instid0(VALU_DEP_1)
	v_fma_f64 v[4:5], v[6:7], v[0:1], v[4:5]
	v_mul_f64 v[0:1], v[8:9], v[0:1]
	v_add_co_u32 v8, vcc_lo, v10, s5
	v_add_co_ci_u32_e32 v9, vcc_lo, s4, v11, vcc_lo
	scratch_load_b128 v[10:13], off, off offset:144 ; 16-byte Folded Reload
	v_mul_f64 v[4:5], v[4:5], s[2:3]
	v_fma_f64 v[0:1], v[6:7], v[2:3], -v[0:1]
	s_delay_alu instid0(VALU_DEP_1)
	v_mul_f64 v[6:7], v[0:1], s[2:3]
	ds_load_b128 v[0:3], v40 offset:28800
	global_store_b128 v[8:9], v[4:7], off
	v_add_co_u32 v8, vcc_lo, v8, s5
	v_add_co_ci_u32_e32 v9, vcc_lo, s4, v9, vcc_lo
	s_waitcnt vmcnt(0) lgkmcnt(0)
	v_mul_f64 v[4:5], v[12:13], v[2:3]
	s_delay_alu instid0(VALU_DEP_1) | instskip(SKIP_1) | instid1(VALU_DEP_2)
	v_fma_f64 v[4:5], v[10:11], v[0:1], v[4:5]
	v_mul_f64 v[0:1], v[12:13], v[0:1]
	v_mul_f64 v[4:5], v[4:5], s[2:3]
	s_delay_alu instid0(VALU_DEP_2)
	v_fma_f64 v[0:1], v[10:11], v[2:3], -v[0:1]
	scratch_load_b128 v[10:13], off, off offset:192 ; 16-byte Folded Reload
	v_mul_f64 v[6:7], v[0:1], s[2:3]
	ds_load_b128 v[0:3], v40 offset:39600
	global_store_b128 v[8:9], v[4:7], off
	v_add_co_u32 v8, vcc_lo, v8, s5
	v_add_co_ci_u32_e32 v9, vcc_lo, s4, v9, vcc_lo
	s_waitcnt vmcnt(0) lgkmcnt(0)
	v_mul_f64 v[4:5], v[12:13], v[2:3]
	s_delay_alu instid0(VALU_DEP_1) | instskip(SKIP_1) | instid1(VALU_DEP_2)
	v_fma_f64 v[4:5], v[10:11], v[0:1], v[4:5]
	v_mul_f64 v[0:1], v[12:13], v[0:1]
	v_mul_f64 v[4:5], v[4:5], s[2:3]
	s_delay_alu instid0(VALU_DEP_2)
	v_fma_f64 v[0:1], v[10:11], v[2:3], -v[0:1]
	scratch_load_b128 v[10:13], off, off offset:216 ; 16-byte Folded Reload
	v_mul_f64 v[6:7], v[0:1], s[2:3]
	ds_load_b128 v[0:3], v40 offset:50400
	global_store_b128 v[8:9], v[4:7], off
	s_waitcnt vmcnt(0) lgkmcnt(0)
	v_mul_f64 v[4:5], v[12:13], v[2:3]
	s_delay_alu instid0(VALU_DEP_1) | instskip(SKIP_1) | instid1(VALU_DEP_2)
	v_fma_f64 v[4:5], v[10:11], v[0:1], v[4:5]
	v_mul_f64 v[0:1], v[12:13], v[0:1]
	v_mul_f64 v[4:5], v[4:5], s[2:3]
	s_delay_alu instid0(VALU_DEP_2) | instskip(NEXT) | instid1(VALU_DEP_1)
	v_fma_f64 v[0:1], v[10:11], v[2:3], -v[0:1]
	v_mul_f64 v[6:7], v[0:1], s[2:3]
	v_add_co_u32 v0, vcc_lo, v8, s5
	v_add_co_ci_u32_e32 v1, vcc_lo, s4, v9, vcc_lo
	global_store_b128 v[0:1], v[4:7], off
.LBB0_2:
	s_nop 0
	s_sendmsg sendmsg(MSG_DEALLOC_VGPRS)
	s_endpgm
	.section	.rodata,"a",@progbits
	.p2align	6, 0x0
	.amdhsa_kernel bluestein_single_fwd_len3375_dim1_dp_op_CI_CI
		.amdhsa_group_segment_fixed_size 54000
		.amdhsa_private_segment_fixed_size 512
		.amdhsa_kernarg_size 104
		.amdhsa_user_sgpr_count 15
		.amdhsa_user_sgpr_dispatch_ptr 0
		.amdhsa_user_sgpr_queue_ptr 0
		.amdhsa_user_sgpr_kernarg_segment_ptr 1
		.amdhsa_user_sgpr_dispatch_id 0
		.amdhsa_user_sgpr_private_segment_size 0
		.amdhsa_wavefront_size32 1
		.amdhsa_uses_dynamic_stack 0
		.amdhsa_enable_private_segment 1
		.amdhsa_system_sgpr_workgroup_id_x 1
		.amdhsa_system_sgpr_workgroup_id_y 0
		.amdhsa_system_sgpr_workgroup_id_z 0
		.amdhsa_system_sgpr_workgroup_info 0
		.amdhsa_system_vgpr_workitem_id 0
		.amdhsa_next_free_vgpr 256
		.amdhsa_next_free_sgpr 21
		.amdhsa_reserve_vcc 1
		.amdhsa_float_round_mode_32 0
		.amdhsa_float_round_mode_16_64 0
		.amdhsa_float_denorm_mode_32 3
		.amdhsa_float_denorm_mode_16_64 3
		.amdhsa_dx10_clamp 1
		.amdhsa_ieee_mode 1
		.amdhsa_fp16_overflow 0
		.amdhsa_workgroup_processor_mode 1
		.amdhsa_memory_ordered 1
		.amdhsa_forward_progress 0
		.amdhsa_shared_vgpr_count 0
		.amdhsa_exception_fp_ieee_invalid_op 0
		.amdhsa_exception_fp_denorm_src 0
		.amdhsa_exception_fp_ieee_div_zero 0
		.amdhsa_exception_fp_ieee_overflow 0
		.amdhsa_exception_fp_ieee_underflow 0
		.amdhsa_exception_fp_ieee_inexact 0
		.amdhsa_exception_int_div_zero 0
	.end_amdhsa_kernel
	.text
.Lfunc_end0:
	.size	bluestein_single_fwd_len3375_dim1_dp_op_CI_CI, .Lfunc_end0-bluestein_single_fwd_len3375_dim1_dp_op_CI_CI
                                        ; -- End function
	.section	.AMDGPU.csdata,"",@progbits
; Kernel info:
; codeLenInByte = 28332
; NumSgprs: 23
; NumVgprs: 256
; ScratchSize: 512
; MemoryBound: 0
; FloatMode: 240
; IeeeMode: 1
; LDSByteSize: 54000 bytes/workgroup (compile time only)
; SGPRBlocks: 2
; VGPRBlocks: 31
; NumSGPRsForWavesPerEU: 23
; NumVGPRsForWavesPerEU: 256
; Occupancy: 4
; WaveLimiterHint : 1
; COMPUTE_PGM_RSRC2:SCRATCH_EN: 1
; COMPUTE_PGM_RSRC2:USER_SGPR: 15
; COMPUTE_PGM_RSRC2:TRAP_HANDLER: 0
; COMPUTE_PGM_RSRC2:TGID_X_EN: 1
; COMPUTE_PGM_RSRC2:TGID_Y_EN: 0
; COMPUTE_PGM_RSRC2:TGID_Z_EN: 0
; COMPUTE_PGM_RSRC2:TIDIG_COMP_CNT: 0
	.text
	.p2alignl 7, 3214868480
	.fill 96, 4, 3214868480
	.type	__hip_cuid_2bd666adc007bb76,@object ; @__hip_cuid_2bd666adc007bb76
	.section	.bss,"aw",@nobits
	.globl	__hip_cuid_2bd666adc007bb76
__hip_cuid_2bd666adc007bb76:
	.byte	0                               ; 0x0
	.size	__hip_cuid_2bd666adc007bb76, 1

	.ident	"AMD clang version 19.0.0git (https://github.com/RadeonOpenCompute/llvm-project roc-6.4.0 25133 c7fe45cf4b819c5991fe208aaa96edf142730f1d)"
	.section	".note.GNU-stack","",@progbits
	.addrsig
	.addrsig_sym __hip_cuid_2bd666adc007bb76
	.amdgpu_metadata
---
amdhsa.kernels:
  - .args:
      - .actual_access:  read_only
        .address_space:  global
        .offset:         0
        .size:           8
        .value_kind:     global_buffer
      - .actual_access:  read_only
        .address_space:  global
        .offset:         8
        .size:           8
        .value_kind:     global_buffer
      - .actual_access:  read_only
        .address_space:  global
        .offset:         16
        .size:           8
        .value_kind:     global_buffer
      - .actual_access:  read_only
        .address_space:  global
        .offset:         24
        .size:           8
        .value_kind:     global_buffer
      - .actual_access:  read_only
        .address_space:  global
        .offset:         32
        .size:           8
        .value_kind:     global_buffer
      - .offset:         40
        .size:           8
        .value_kind:     by_value
      - .address_space:  global
        .offset:         48
        .size:           8
        .value_kind:     global_buffer
      - .address_space:  global
        .offset:         56
        .size:           8
        .value_kind:     global_buffer
      - .address_space:  global
        .offset:         64
        .size:           8
        .value_kind:     global_buffer
      - .address_space:  global
        .offset:         72
        .size:           8
        .value_kind:     global_buffer
      - .offset:         80
        .size:           4
        .value_kind:     by_value
      - .address_space:  global
        .offset:         88
        .size:           8
        .value_kind:     global_buffer
      - .address_space:  global
        .offset:         96
        .size:           8
        .value_kind:     global_buffer
    .group_segment_fixed_size: 54000
    .kernarg_segment_align: 8
    .kernarg_segment_size: 104
    .language:       OpenCL C
    .language_version:
      - 2
      - 0
    .max_flat_workgroup_size: 225
    .name:           bluestein_single_fwd_len3375_dim1_dp_op_CI_CI
    .private_segment_fixed_size: 512
    .sgpr_count:     23
    .sgpr_spill_count: 0
    .symbol:         bluestein_single_fwd_len3375_dim1_dp_op_CI_CI.kd
    .uniform_work_group_size: 1
    .uses_dynamic_stack: false
    .vgpr_count:     256
    .vgpr_spill_count: 127
    .wavefront_size: 32
    .workgroup_processor_mode: 1
amdhsa.target:   amdgcn-amd-amdhsa--gfx1100
amdhsa.version:
  - 1
  - 2
...

	.end_amdgpu_metadata
